;; amdgpu-corpus repo=ggml-org/llama.cpp kind=compiled arch=gfx1201 opt=O3
	.amdgcn_target "amdgcn-amd-amdhsa--gfx1201"
	.amdhsa_code_object_version 6
	.section	.text._ZL12ssm_conv_f32ILb1ELm128ELm3EEvPKfS1_S1_iiiiPfiiil,"axG",@progbits,_ZL12ssm_conv_f32ILb1ELm128ELm3EEvPKfS1_S1_iiiiPfiiil,comdat
	.globl	_ZL12ssm_conv_f32ILb1ELm128ELm3EEvPKfS1_S1_iiiiPfiiil ; -- Begin function _ZL12ssm_conv_f32ILb1ELm128ELm3EEvPKfS1_S1_iiiiPfiiil
	.p2align	8
	.type	_ZL12ssm_conv_f32ILb1ELm128ELm3EEvPKfS1_S1_iiiiPfiiil,@function
_ZL12ssm_conv_f32ILb1ELm128ELm3EEvPKfS1_S1_iiiiPfiiil: ; @_ZL12ssm_conv_f32ILb1ELm128ELm3EEvPKfS1_S1_iiiiPfiiil
; %bb.0:
	s_load_b64 s[2:3], s[0:1], 0x10
	s_mov_b32 s4, ttmp7
	s_ashr_i32 s5, ttmp7, 31
	v_lshlrev_b32_e32 v8, 2, v0
	s_lshl_b64 s[12:13], s[4:5], 7
	s_wait_kmcnt 0x0
	s_cmp_eq_u64 s[2:3], 0
	s_cbranch_scc1 .LBB0_2
; %bb.1:
	s_lshl_b64 s[4:5], s[12:13], 2
	s_delay_alu instid0(SALU_CYCLE_1)
	s_add_nc_u64 s[2:3], s[2:3], s[4:5]
	global_load_b32 v10, v8, s[2:3]
	s_load_b64 s[2:3], s[0:1], 0x40
	s_wait_kmcnt 0x0
	v_cmp_lt_i64_e64 s4, s[2:3], 1
	s_and_b32 vcc_lo, exec_lo, s4
	s_cbranch_vccz .LBB0_3
	s_branch .LBB0_6
.LBB0_2:
	v_mov_b32_e32 v10, 0
	s_load_b64 s[2:3], s[0:1], 0x40
	s_wait_kmcnt 0x0
	v_cmp_lt_i64_e64 s4, s[2:3], 1
	s_and_b32 vcc_lo, exec_lo, s4
	s_cbranch_vccnz .LBB0_6
.LBB0_3:
	s_clause 0x1
	s_load_b96 s[8:10], s[0:1], 0x1c
	s_load_b128 s[4:7], s[0:1], 0x0
	s_wait_kmcnt 0x0
	s_ashr_i32 s11, s10, 2
	s_ashr_i32 s14, s8, 2
	v_mul_lo_u32 v1, s11, v0
	v_mul_lo_u32 v3, s14, v0
	s_ashr_i32 s11, s10, 31
	s_mul_i32 s14, s9, ttmp9
	s_ashr_i32 s9, s8, 31
	s_wait_alu 0xfffe
	s_mul_u64 s[10:11], s[12:13], s[10:11]
	s_ashr_i32 s15, s14, 31
	s_mul_u64 s[8:9], s[12:13], s[8:9]
	v_ashrrev_i32_e32 v2, 31, v1
	v_ashrrev_i32_e32 v4, 31, v3
	s_wait_alu 0xfffe
	s_add_nc_u64 s[4:5], s[4:5], s[14:15]
	s_add_nc_u64 s[6:7], s[6:7], s[10:11]
	s_add_nc_u64 s[4:5], s[4:5], s[8:9]
	v_lshlrev_b64_e32 v[0:1], 2, v[1:2]
	v_lshlrev_b64_e32 v[2:3], 2, v[3:4]
	s_delay_alu instid0(VALU_DEP_2) | instskip(NEXT) | instid1(VALU_DEP_1)
	v_add_co_u32 v0, vcc_lo, s6, v0
	v_add_co_ci_u32_e64 v1, null, s7, v1, vcc_lo
	s_delay_alu instid0(VALU_DEP_3) | instskip(SKIP_1) | instid1(VALU_DEP_4)
	v_add_co_u32 v6, vcc_lo, s4, v2
	s_wait_alu 0xfffd
	v_add_co_ci_u32_e64 v7, null, s5, v3, vcc_lo
	global_load_b96 v[0:2], v[0:1], off
	global_load_b96 v[3:5], v[6:7], off
	s_clause 0x1
	s_load_b96 s[4:6], s[0:1], 0x30
	s_load_b64 s[0:1], s[0:1], 0x28
	s_wait_kmcnt 0x0
	s_mul_i32 s6, s6, ttmp9
	s_ashr_i32 s9, s4, 31
	s_wait_alu 0xfffe
	s_ashr_i32 s7, s6, 31
	s_mov_b32 s8, s4
	s_wait_alu 0xfffe
	s_add_nc_u64 s[0:1], s[0:1], s[6:7]
	s_mul_u64 s[8:9], s[12:13], s[8:9]
	s_cmp_eq_u64 s[2:3], 1
	s_add_nc_u64 s[6:7], s[0:1], s[8:9]
	s_wait_loadcnt 0x0
	v_fma_f32 v9, v0, v3, 0
	s_delay_alu instid0(VALU_DEP_1) | instskip(NEXT) | instid1(VALU_DEP_1)
	v_fmac_f32_e32 v9, v1, v4
	v_fmac_f32_e32 v9, v2, v5
	s_delay_alu instid0(VALU_DEP_1) | instskip(NEXT) | instid1(VALU_DEP_1)
	v_add_f32_e32 v9, v10, v9
	v_mul_f32_e32 v11, 0xbfb8aa3b, v9
	v_cmp_nlt_f32_e32 vcc_lo, 0x42ce8ed0, v9
	s_delay_alu instid0(VALU_DEP_2) | instskip(SKIP_1) | instid1(VALU_DEP_2)
	v_fma_f32 v12, 0xbfb8aa3b, v9, -v11
	v_rndne_f32_e32 v13, v11
	v_fmac_f32_e32 v12, 0xb2a5705f, v9
	s_delay_alu instid0(VALU_DEP_2) | instskip(NEXT) | instid1(VALU_DEP_1)
	v_sub_f32_e32 v11, v11, v13
	v_add_f32_e32 v11, v11, v12
	v_cvt_i32_f32_e32 v12, v13
	s_delay_alu instid0(VALU_DEP_2) | instskip(NEXT) | instid1(TRANS32_DEP_1)
	v_exp_f32_e32 v11, v11
	v_ldexp_f32 v11, v11, v12
	s_wait_alu 0xfffd
	s_delay_alu instid0(VALU_DEP_1) | instskip(SKIP_2) | instid1(VALU_DEP_2)
	v_cndmask_b32_e32 v11, 0, v11, vcc_lo
	v_cmp_ngt_f32_e32 vcc_lo, 0xc2b17218, v9
	s_wait_alu 0xfffd
	v_cndmask_b32_e32 v11, 0x7f800000, v11, vcc_lo
	s_delay_alu instid0(VALU_DEP_1) | instskip(NEXT) | instid1(VALU_DEP_1)
	v_add_f32_e32 v11, 1.0, v11
	v_div_scale_f32 v12, null, v11, v11, v9
	s_delay_alu instid0(VALU_DEP_1) | instskip(NEXT) | instid1(TRANS32_DEP_1)
	v_rcp_f32_e32 v13, v12
	v_fma_f32 v14, -v12, v13, 1.0
	s_delay_alu instid0(VALU_DEP_1) | instskip(SKIP_1) | instid1(VALU_DEP_1)
	v_fmac_f32_e32 v13, v14, v13
	v_div_scale_f32 v14, vcc_lo, v9, v11, v9
	v_mul_f32_e32 v15, v14, v13
	s_delay_alu instid0(VALU_DEP_1) | instskip(NEXT) | instid1(VALU_DEP_1)
	v_fma_f32 v16, -v12, v15, v14
	v_fmac_f32_e32 v15, v16, v13
	s_delay_alu instid0(VALU_DEP_1) | instskip(SKIP_1) | instid1(VALU_DEP_1)
	v_fma_f32 v12, -v12, v15, v14
	s_wait_alu 0xfffd
	v_div_fmas_f32 v12, v12, v13, v15
	s_delay_alu instid0(VALU_DEP_1)
	v_div_fixup_f32 v9, v12, v11, v9
	global_store_b32 v8, v9, s[6:7]
	s_cbranch_scc1 .LBB0_6
; %bb.4:
	s_ashr_i32 s4, s5, 2
	s_add_nc_u64 s[6:7], s[2:3], -1
	s_wait_alu 0xfffe
	s_ashr_i32 s5, s4, 31
	v_add_co_u32 v6, vcc_lo, v6, 12
	s_wait_alu 0xfffe
	s_lshl_b64 s[4:5], s[4:5], 2
	s_wait_alu 0xfffd
	v_add_co_ci_u32_e64 v7, null, 0, v7, vcc_lo
	s_wait_alu 0xfffe
	s_add_nc_u64 s[2:3], s[8:9], s[4:5]
	s_mov_b64 s[8:9], 1
	s_wait_alu 0xfffe
	s_add_nc_u64 s[0:1], s[0:1], s[2:3]
	s_mov_b64 s[10:11], 0xaaaaaaab
	v_add_co_u32 v8, s0, s0, v8
	s_wait_alu 0xf1ff
	v_add_co_ci_u32_e64 v9, null, s1, 0, s0
	s_mov_b64 s[12:13], 0xaaaaaaaa
	s_mov_b64 s[14:15], 3
	;; [unrolled: 1-line block ×4, first 2 shown]
	s_mov_b32 s3, 0
.LBB0_5:                                ; =>This Inner Loop Header: Depth=1
	global_load_b32 v11, v[6:7], off
	s_mov_b32 s2, s9
	s_mov_b32 s44, s8
	s_wait_alu 0xfffe
	s_mov_b32 s45, s3
	s_mov_b32 s46, s14
	;; [unrolled: 1-line block ×5, first 2 shown]
	s_mul_u64 s[52:53], s[2:3], s[10:11]
	s_mul_u64 s[54:55], s[44:45], s[10:11]
	;; [unrolled: 1-line block ×3, first 2 shown]
	s_mov_b32 s2, s15
	s_mul_u64 s[58:59], s[46:47], s[10:11]
	s_mov_b32 s37, s3
	s_mov_b32 s39, s3
	;; [unrolled: 1-line block ×4, first 2 shown]
	s_mul_u64 s[60:61], s[48:49], s[10:11]
	s_wait_alu 0xfffe
	s_mul_u64 s[64:65], s[2:3], s[10:11]
	s_mul_u64 s[66:67], s[2:3], s[12:13]
	s_mov_b32 s2, s17
	s_mov_b32 s36, s55
	;; [unrolled: 1-line block ×4, first 2 shown]
	s_mul_u64 s[62:63], s[50:51], s[10:11]
	s_wait_alu 0xfffe
	s_mul_u64 s[68:69], s[2:3], s[10:11]
	s_mul_u64 s[70:71], s[2:3], s[12:13]
	s_mov_b32 s2, s19
	s_mov_b32 s40, s61
	s_add_nc_u64 s[36:37], s[52:53], s[36:37]
	s_add_nc_u64 s[38:39], s[64:65], s[38:39]
	s_mov_b32 s43, s3
	s_mul_u64 s[44:45], s[44:45], s[12:13]
	s_mul_u64 s[46:47], s[46:47], s[12:13]
	s_mov_b32 s42, s63
	s_wait_alu 0xfffe
	s_mul_u64 s[54:55], s[2:3], s[10:11]
	s_mov_b32 s0, s37
	s_mov_b32 s37, s3
	;; [unrolled: 1-line block ×4, first 2 shown]
	s_add_nc_u64 s[40:41], s[68:69], s[40:41]
	s_mul_u64 s[48:49], s[48:49], s[12:13]
	s_add_nc_u64 s[36:37], s[44:45], s[36:37]
	s_add_nc_u64 s[38:39], s[46:47], s[38:39]
	s_mov_b32 s24, s41
	s_mov_b32 s41, s3
	s_add_nc_u64 s[42:43], s[54:55], s[42:43]
	s_mov_b32 s1, s3
	s_mov_b32 s21, s3
	;; [unrolled: 1-line block ×4, first 2 shown]
	s_mul_u64 s[50:51], s[50:51], s[12:13]
	s_mov_b32 s20, s37
	s_mov_b32 s28, s39
	s_add_nc_u64 s[36:37], s[48:49], s[40:41]
	s_mov_b32 s26, s43
	s_mov_b32 s43, s3
	;; [unrolled: 1-line block ×4, first 2 shown]
	s_wait_alu 0xfffe
	s_add_nc_u64 s[0:1], s[0:1], s[20:21]
	s_add_nc_u64 s[20:21], s[22:23], s[28:29]
	s_mov_b32 s30, s37
	s_add_nc_u64 s[22:23], s[50:51], s[42:43]
	s_mov_b32 s27, s3
	s_mov_b32 s35, s3
	s_add_nc_u64 s[20:21], s[66:67], s[20:21]
	s_add_nc_u64 s[24:25], s[24:25], s[30:31]
	s_mov_b32 s34, s23
	s_mul_u64 s[58:59], s[2:3], s[12:13]
	s_lshr_b64 s[20:21], s[20:21], 1
	s_add_nc_u64 s[22:23], s[70:71], s[24:25]
	s_add_nc_u64 s[24:25], s[26:27], s[34:35]
	s_wait_alu 0xfffe
	s_add_nc_u64 s[0:1], s[56:57], s[0:1]
	s_mul_i32 s26, s20, 3
	s_add_nc_u64 s[20:21], s[58:59], s[24:25]
	s_wait_alu 0xfffe
	s_lshr_b64 s[0:1], s[0:1], 1
	s_lshr_b64 s[20:21], s[20:21], 1
	s_wait_alu 0xfffe
	s_mul_i32 s2, s0, 3
	s_lshr_b64 s[0:1], s[22:23], 1
	s_mul_i32 s1, s20, 3
	s_wait_alu 0xfffe
	s_mul_i32 s0, s0, 3
	s_sub_co_i32 s22, s8, s2
	s_sub_co_i32 s2, s18, s1
	;; [unrolled: 1-line block ×3, first 2 shown]
	s_wait_alu 0xfffe
	s_sub_co_i32 s20, s16, s0
	s_cmp_eq_u32 s2, 2
	v_add_co_u32 v6, vcc_lo, v6, 4
	s_cselect_b32 s0, -1, 0
	s_cmp_eq_u32 s2, 1
	s_wait_alu 0xfffd
	v_add_co_ci_u32_e64 v7, null, 0, v7, vcc_lo
	s_cselect_b32 s1, -1, 0
	s_cmp_eq_u32 s2, 0
	s_add_nc_u64 s[6:7], s[6:7], -1
	s_cselect_b32 s2, -1, 0
	s_cmp_eq_u32 s22, 1
	s_add_nc_u64 s[8:9], s[8:9], 1
	s_add_nc_u64 s[14:15], s[14:15], 1
	s_add_nc_u64 s[16:17], s[16:17], 1
	s_add_nc_u64 s[18:19], s[18:19], 1
	s_wait_loadcnt 0x0
	s_wait_alu 0xfffe
	v_cndmask_b32_e64 v4, v4, v11, s1
	v_cndmask_b32_e64 v3, v3, v11, s2
	;; [unrolled: 1-line block ×3, first 2 shown]
	s_cselect_b32 s0, -1, 0
	s_cmp_eq_u32 s22, 2
	s_wait_alu 0xfffe
	v_cndmask_b32_e64 v11, v3, v4, s0
	s_cselect_b32 s0, -1, 0
	s_cmp_eq_u32 s20, 1
	s_cselect_b32 s1, -1, 0
	s_cmp_eq_u32 s20, 2
	s_wait_alu 0xfffe
	v_cndmask_b32_e64 v12, v3, v4, s1
	v_cndmask_b32_e64 v11, v11, v5, s0
	s_cselect_b32 s1, -1, 0
	s_cmp_eq_u32 s23, 1
	s_cselect_b32 s0, -1, 0
	s_wait_alu 0xfffe
	v_cndmask_b32_e64 v12, v12, v5, s1
	v_cndmask_b32_e64 v13, v3, v4, s0
	v_fma_f32 v11, v0, v11, 0
	s_cmp_eq_u32 s23, 2
	s_cselect_b32 s0, -1, 0
	s_cmp_eq_u64 s[6:7], 0
	s_wait_alu 0xfffe
	v_cndmask_b32_e64 v13, v13, v5, s0
	v_fmac_f32_e32 v11, v1, v12
	s_delay_alu instid0(VALU_DEP_1) | instskip(NEXT) | instid1(VALU_DEP_1)
	v_fmac_f32_e32 v11, v2, v13
	v_add_f32_e32 v11, v10, v11
	s_delay_alu instid0(VALU_DEP_1) | instskip(NEXT) | instid1(VALU_DEP_1)
	v_mul_f32_e32 v12, 0xbfb8aa3b, v11
	v_fma_f32 v13, 0xbfb8aa3b, v11, -v12
	v_rndne_f32_e32 v14, v12
	s_delay_alu instid0(VALU_DEP_1) | instskip(NEXT) | instid1(VALU_DEP_1)
	v_dual_fmac_f32 v13, 0xb2a5705f, v11 :: v_dual_sub_f32 v12, v12, v14
	v_add_f32_e32 v12, v12, v13
	v_cvt_i32_f32_e32 v13, v14
	v_cmp_nlt_f32_e64 s0, 0x42ce8ed0, v11
	s_delay_alu instid0(VALU_DEP_3) | instskip(NEXT) | instid1(TRANS32_DEP_1)
	v_exp_f32_e32 v12, v12
	v_ldexp_f32 v12, v12, v13
	s_wait_alu 0xf1ff
	s_delay_alu instid0(VALU_DEP_1) | instskip(SKIP_2) | instid1(VALU_DEP_1)
	v_cndmask_b32_e64 v12, 0, v12, s0
	v_cmp_ngt_f32_e64 s0, 0xc2b17218, v11
	s_wait_alu 0xf1ff
	v_cndmask_b32_e64 v12, 0x7f800000, v12, s0
	s_delay_alu instid0(VALU_DEP_1) | instskip(NEXT) | instid1(VALU_DEP_1)
	v_add_f32_e32 v12, 1.0, v12
	v_div_scale_f32 v13, null, v12, v12, v11
	v_div_scale_f32 v15, vcc_lo, v11, v12, v11
	s_delay_alu instid0(VALU_DEP_2) | instskip(NEXT) | instid1(TRANS32_DEP_1)
	v_rcp_f32_e32 v14, v13
	v_fma_f32 v16, -v13, v14, 1.0
	s_delay_alu instid0(VALU_DEP_1) | instskip(NEXT) | instid1(VALU_DEP_1)
	v_fmac_f32_e32 v14, v16, v14
	v_mul_f32_e32 v16, v15, v14
	s_delay_alu instid0(VALU_DEP_1) | instskip(NEXT) | instid1(VALU_DEP_1)
	v_fma_f32 v17, -v13, v16, v15
	v_fmac_f32_e32 v16, v17, v14
	s_delay_alu instid0(VALU_DEP_1) | instskip(SKIP_1) | instid1(VALU_DEP_1)
	v_fma_f32 v13, -v13, v16, v15
	s_wait_alu 0xfffd
	v_div_fmas_f32 v13, v13, v14, v16
	s_delay_alu instid0(VALU_DEP_1)
	v_div_fixup_f32 v11, v13, v12, v11
	global_store_b32 v[8:9], v11, off
	v_add_co_u32 v8, vcc_lo, v8, s4
	s_wait_alu 0xfffd
	v_add_co_ci_u32_e64 v9, null, s5, v9, vcc_lo
	s_cbranch_scc0 .LBB0_5
.LBB0_6:
	s_endpgm
	.section	.rodata,"a",@progbits
	.p2align	6, 0x0
	.amdhsa_kernel _ZL12ssm_conv_f32ILb1ELm128ELm3EEvPKfS1_S1_iiiiPfiiil
		.amdhsa_group_segment_fixed_size 0
		.amdhsa_private_segment_fixed_size 0
		.amdhsa_kernarg_size 72
		.amdhsa_user_sgpr_count 2
		.amdhsa_user_sgpr_dispatch_ptr 0
		.amdhsa_user_sgpr_queue_ptr 0
		.amdhsa_user_sgpr_kernarg_segment_ptr 1
		.amdhsa_user_sgpr_dispatch_id 0
		.amdhsa_user_sgpr_private_segment_size 0
		.amdhsa_wavefront_size32 1
		.amdhsa_uses_dynamic_stack 0
		.amdhsa_enable_private_segment 0
		.amdhsa_system_sgpr_workgroup_id_x 1
		.amdhsa_system_sgpr_workgroup_id_y 1
		.amdhsa_system_sgpr_workgroup_id_z 0
		.amdhsa_system_sgpr_workgroup_info 0
		.amdhsa_system_vgpr_workitem_id 0
		.amdhsa_next_free_vgpr 18
		.amdhsa_next_free_sgpr 72
		.amdhsa_reserve_vcc 1
		.amdhsa_float_round_mode_32 0
		.amdhsa_float_round_mode_16_64 0
		.amdhsa_float_denorm_mode_32 3
		.amdhsa_float_denorm_mode_16_64 3
		.amdhsa_fp16_overflow 0
		.amdhsa_workgroup_processor_mode 1
		.amdhsa_memory_ordered 1
		.amdhsa_forward_progress 1
		.amdhsa_inst_pref_size 13
		.amdhsa_round_robin_scheduling 0
		.amdhsa_exception_fp_ieee_invalid_op 0
		.amdhsa_exception_fp_denorm_src 0
		.amdhsa_exception_fp_ieee_div_zero 0
		.amdhsa_exception_fp_ieee_overflow 0
		.amdhsa_exception_fp_ieee_underflow 0
		.amdhsa_exception_fp_ieee_inexact 0
		.amdhsa_exception_int_div_zero 0
	.end_amdhsa_kernel
	.section	.text._ZL12ssm_conv_f32ILb1ELm128ELm3EEvPKfS1_S1_iiiiPfiiil,"axG",@progbits,_ZL12ssm_conv_f32ILb1ELm128ELm3EEvPKfS1_S1_iiiiPfiiil,comdat
.Lfunc_end0:
	.size	_ZL12ssm_conv_f32ILb1ELm128ELm3EEvPKfS1_S1_iiiiPfiiil, .Lfunc_end0-_ZL12ssm_conv_f32ILb1ELm128ELm3EEvPKfS1_S1_iiiiPfiiil
                                        ; -- End function
	.set _ZL12ssm_conv_f32ILb1ELm128ELm3EEvPKfS1_S1_iiiiPfiiil.num_vgpr, 18
	.set _ZL12ssm_conv_f32ILb1ELm128ELm3EEvPKfS1_S1_iiiiPfiiil.num_agpr, 0
	.set _ZL12ssm_conv_f32ILb1ELm128ELm3EEvPKfS1_S1_iiiiPfiiil.numbered_sgpr, 72
	.set _ZL12ssm_conv_f32ILb1ELm128ELm3EEvPKfS1_S1_iiiiPfiiil.num_named_barrier, 0
	.set _ZL12ssm_conv_f32ILb1ELm128ELm3EEvPKfS1_S1_iiiiPfiiil.private_seg_size, 0
	.set _ZL12ssm_conv_f32ILb1ELm128ELm3EEvPKfS1_S1_iiiiPfiiil.uses_vcc, 1
	.set _ZL12ssm_conv_f32ILb1ELm128ELm3EEvPKfS1_S1_iiiiPfiiil.uses_flat_scratch, 0
	.set _ZL12ssm_conv_f32ILb1ELm128ELm3EEvPKfS1_S1_iiiiPfiiil.has_dyn_sized_stack, 0
	.set _ZL12ssm_conv_f32ILb1ELm128ELm3EEvPKfS1_S1_iiiiPfiiil.has_recursion, 0
	.set _ZL12ssm_conv_f32ILb1ELm128ELm3EEvPKfS1_S1_iiiiPfiiil.has_indirect_call, 0
	.section	.AMDGPU.csdata,"",@progbits
; Kernel info:
; codeLenInByte = 1632
; TotalNumSgprs: 74
; NumVgprs: 18
; ScratchSize: 0
; MemoryBound: 0
; FloatMode: 240
; IeeeMode: 1
; LDSByteSize: 0 bytes/workgroup (compile time only)
; SGPRBlocks: 0
; VGPRBlocks: 2
; NumSGPRsForWavesPerEU: 74
; NumVGPRsForWavesPerEU: 18
; Occupancy: 16
; WaveLimiterHint : 0
; COMPUTE_PGM_RSRC2:SCRATCH_EN: 0
; COMPUTE_PGM_RSRC2:USER_SGPR: 2
; COMPUTE_PGM_RSRC2:TRAP_HANDLER: 0
; COMPUTE_PGM_RSRC2:TGID_X_EN: 1
; COMPUTE_PGM_RSRC2:TGID_Y_EN: 1
; COMPUTE_PGM_RSRC2:TGID_Z_EN: 0
; COMPUTE_PGM_RSRC2:TIDIG_COMP_CNT: 0
	.section	.text._ZL23ssm_conv_long_token_f32ILb1ELm128ELm3ELl32EEvPKfS1_S1_iiiiPfiiil,"axG",@progbits,_ZL23ssm_conv_long_token_f32ILb1ELm128ELm3ELl32EEvPKfS1_S1_iiiiPfiiil,comdat
	.globl	_ZL23ssm_conv_long_token_f32ILb1ELm128ELm3ELl32EEvPKfS1_S1_iiiiPfiiil ; -- Begin function _ZL23ssm_conv_long_token_f32ILb1ELm128ELm3ELl32EEvPKfS1_S1_iiiiPfiiil
	.p2align	8
	.type	_ZL23ssm_conv_long_token_f32ILb1ELm128ELm3ELl32EEvPKfS1_S1_iiiiPfiiil,@function
_ZL23ssm_conv_long_token_f32ILb1ELm128ELm3ELl32EEvPKfS1_S1_iiiiPfiiil: ; @_ZL23ssm_conv_long_token_f32ILb1ELm128ELm3ELl32EEvPKfS1_S1_iiiiPfiiil
; %bb.0:
	v_mul_u32_u24_e32 v1, 0x788, v0
	s_clause 0x1
	s_load_b128 s[4:7], s[0:1], 0x18
	s_load_b64 s[8:9], s[0:1], 0x0
	s_lshr_b32 s10, ttmp7, 11
	s_and_b32 s2, ttmp7, 0xffff
	v_lshrrev_b32_e32 v13, 16, v1
	s_and_b32 s12, s10, 0x1fffe0
	s_mov_b32 s3, 0
	s_lshl_b32 s2, s2, 7
	s_mov_b32 s13, s3
	v_mul_lo_u16 v1, v13, 34
	s_delay_alu instid0(VALU_DEP_1) | instskip(NEXT) | instid1(VALU_DEP_1)
	v_sub_nc_u16 v14, v0, v1
	v_or_b32_e32 v1, 0x80, v14
	s_wait_kmcnt 0x0
	s_mul_i32 s10, s6, ttmp9
	s_ashr_i32 s6, s5, 2
	v_and_b32_e32 v14, 0xffff, v14
	s_ashr_i32 s15, s5, 31
	v_mul_lo_u16 v2, 0xf1, v1
	s_mov_b32 s14, s5
	s_ashr_i32 s11, s10, 31
	s_ashr_i32 s17, s4, 31
	s_mov_b32 s16, s4
	v_lshrrev_b16 v15, 13, v2
	s_mul_u64 s[4:5], s[2:3], s[14:15]
	s_add_nc_u64 s[8:9], s[8:9], s[10:11]
	s_mul_u64 s[10:11], s[12:13], s[16:17]
	s_add_nc_u64 s[4:5], s[8:9], s[4:5]
	v_mul_lo_u16 v2, v15, 34
	v_and_b32_e32 v18, 0xffff, v15
	s_add_nc_u64 s[4:5], s[4:5], s[10:11]
	s_mov_b32 s8, exec_lo
	s_delay_alu instid0(VALU_DEP_2) | instskip(NEXT) | instid1(VALU_DEP_2)
	v_sub_nc_u16 v1, v1, v2
	v_add_nc_u32_e32 v43, v13, v18
	s_delay_alu instid0(VALU_DEP_2) | instskip(NEXT) | instid1(VALU_DEP_1)
	v_and_b32_e32 v1, 0xff, v1
	v_or_b32_e32 v2, 0x80, v1
	s_delay_alu instid0(VALU_DEP_1) | instskip(NEXT) | instid1(VALU_DEP_1)
	v_mul_lo_u16 v3, 0xf1, v2
	v_lshrrev_b16 v19, 13, v3
	s_delay_alu instid0(VALU_DEP_1) | instskip(NEXT) | instid1(VALU_DEP_1)
	v_mul_lo_u16 v3, v19, 34
	v_sub_nc_u16 v2, v2, v3
	s_delay_alu instid0(VALU_DEP_1) | instskip(NEXT) | instid1(VALU_DEP_1)
	v_and_b32_e32 v2, 0xff, v2
	v_or_b32_e32 v3, 0x80, v2
	s_delay_alu instid0(VALU_DEP_1) | instskip(NEXT) | instid1(VALU_DEP_1)
	v_mul_lo_u16 v4, 0xf1, v3
	v_lshrrev_b16 v22, 13, v4
	s_delay_alu instid0(VALU_DEP_1) | instskip(NEXT) | instid1(VALU_DEP_1)
	v_mul_lo_u16 v4, v22, 34
	v_sub_nc_u16 v3, v3, v4
	s_delay_alu instid0(VALU_DEP_1) | instskip(NEXT) | instid1(VALU_DEP_1)
	;; [unrolled: 9-line block ×6, first 2 shown]
	v_and_b32_e32 v7, 0xff, v7
	v_or_b32_e32 v8, 0x80, v7
	s_delay_alu instid0(VALU_DEP_1) | instskip(NEXT) | instid1(VALU_DEP_1)
	v_mul_lo_u16 v9, 0xf1, v8
	v_lshrrev_b16 v33, 13, v9
	s_delay_alu instid0(VALU_DEP_1) | instskip(SKIP_1) | instid1(VALU_DEP_2)
	v_mul_lo_u16 v9, v33, 34
	v_and_b32_e32 v36, 0xffff, v33
	v_sub_nc_u16 v8, v8, v9
	s_delay_alu instid0(VALU_DEP_1) | instskip(NEXT) | instid1(VALU_DEP_1)
	v_and_b32_e32 v8, 0xff, v8
	v_or_b32_e32 v9, 0x80, v8
	s_delay_alu instid0(VALU_DEP_1) | instskip(NEXT) | instid1(VALU_DEP_1)
	v_mul_lo_u16 v10, 0xf1, v9
	v_lshrrev_b16 v34, 13, v10
	s_delay_alu instid0(VALU_DEP_1) | instskip(SKIP_1) | instid1(VALU_DEP_2)
	v_mul_lo_u16 v10, v34, 34
	v_and_b32_e32 v34, 0xffff, v34
	v_sub_nc_u16 v9, v9, v10
	s_delay_alu instid0(VALU_DEP_1) | instskip(NEXT) | instid1(VALU_DEP_1)
	v_and_b32_e32 v9, 0xff, v9
	v_or_b32_e32 v10, 0x80, v9
	s_delay_alu instid0(VALU_DEP_1) | instskip(NEXT) | instid1(VALU_DEP_1)
	v_mul_lo_u16 v11, 0xf1, v10
	v_lshrrev_b16 v38, 13, v11
	s_delay_alu instid0(VALU_DEP_1) | instskip(NEXT) | instid1(VALU_DEP_1)
	v_mul_lo_u16 v11, v38, 34
	v_sub_nc_u16 v10, v10, v11
	s_delay_alu instid0(VALU_DEP_1) | instskip(NEXT) | instid1(VALU_DEP_1)
	v_and_b32_e32 v10, 0xff, v10
	v_or_b32_e32 v11, 0x80, v10
	s_delay_alu instid0(VALU_DEP_1) | instskip(NEXT) | instid1(VALU_DEP_1)
	v_mul_lo_u16 v12, 0xf1, v11
	v_lshrrev_b16 v40, 13, v12
	s_delay_alu instid0(VALU_DEP_1) | instskip(NEXT) | instid1(VALU_DEP_1)
	v_mul_lo_u16 v12, v40, 34
	;; [unrolled: 9-line block ×3, first 2 shown]
	v_sub_nc_u16 v12, v12, v16
	s_delay_alu instid0(VALU_DEP_1) | instskip(NEXT) | instid1(VALU_DEP_1)
	v_and_b32_e32 v12, 0xff, v12
	v_or_b32_e32 v17, 0x80, v12
	s_delay_alu instid0(VALU_DEP_1) | instskip(NEXT) | instid1(VALU_DEP_1)
	v_mul_lo_u16 v16, 0xf1, v17
	v_lshrrev_b16 v42, 13, v16
	v_mad_co_u64_u32 v[15:16], null, s6, v13, v[14:15]
	v_lshlrev_b32_e32 v14, 2, v14
	s_delay_alu instid0(VALU_DEP_3) | instskip(NEXT) | instid1(VALU_DEP_3)
	v_mul_lo_u16 v20, v42, 34
	v_ashrrev_i32_e32 v16, 31, v15
	s_delay_alu instid0(VALU_DEP_2) | instskip(SKIP_2) | instid1(VALU_DEP_4)
	v_sub_nc_u16 v20, v17, v20
	v_mad_co_u64_u32 v[17:18], null, v43, s6, v[1:2]
	v_and_b32_e32 v18, 0xffff, v19
	v_lshlrev_b64_e32 v[15:16], 2, v[15:16]
	s_delay_alu instid0(VALU_DEP_4) | instskip(SKIP_1) | instid1(VALU_DEP_4)
	v_and_b32_e32 v19, 0xff, v20
	v_lshlrev_b32_e32 v1, 2, v1
	v_add_nc_u32_e32 v44, v43, v18
	v_ashrrev_i32_e32 v18, 31, v17
	s_delay_alu instid0(VALU_DEP_4) | instskip(SKIP_1) | instid1(VALU_DEP_4)
	v_or_b32_e32 v25, 0x80, v19
	v_add_co_u32 v15, vcc_lo, s4, v15
	v_mad_co_u64_u32 v[20:21], null, v44, s6, v[2:3]
	v_and_b32_e32 v21, 0xffff, v22
	s_delay_alu instid0(VALU_DEP_4) | instskip(SKIP_2) | instid1(VALU_DEP_4)
	v_mul_lo_u16 v22, 0xf1, v25
	v_lshlrev_b64_e32 v[17:18], 2, v[17:18]
	v_add_co_ci_u32_e64 v16, null, s5, v16, vcc_lo
	v_add_nc_u32_e32 v45, v44, v21
	s_delay_alu instid0(VALU_DEP_4) | instskip(SKIP_2) | instid1(VALU_DEP_4)
	v_lshrrev_b16 v46, 13, v22
	v_ashrrev_i32_e32 v21, 31, v20
	v_add_co_u32 v17, vcc_lo, s4, v17
	v_mad_co_u64_u32 v[22:23], null, v45, s6, v[3:4]
	v_and_b32_e32 v23, 0xffff, v24
	v_mul_lo_u16 v24, v46, 34
	v_lshlrev_b64_e32 v[20:21], 2, v[20:21]
	s_wait_alu 0xfffd
	v_add_co_ci_u32_e64 v18, null, s5, v18, vcc_lo
	v_add_nc_u32_e32 v47, v45, v23
	v_sub_nc_u16 v27, v25, v24
	v_ashrrev_i32_e32 v23, 31, v22
	v_add_co_u32 v20, vcc_lo, s4, v20
	s_delay_alu instid0(VALU_DEP_4)
	v_mad_co_u64_u32 v[24:25], null, v47, s6, v[4:5]
	v_and_b32_e32 v25, 0xffff, v26
	v_and_b32_e32 v26, 0xff, v27
	v_lshlrev_b64_e32 v[22:23], 2, v[22:23]
	s_wait_alu 0xfffd
	v_add_co_ci_u32_e64 v21, null, s5, v21, vcc_lo
	v_add_nc_u32_e32 v48, v47, v25
	v_or_b32_e32 v32, 0x80, v26
	v_ashrrev_i32_e32 v25, 31, v24
	v_add_co_u32 v22, vcc_lo, s4, v22
	s_delay_alu instid0(VALU_DEP_4)
	v_mad_co_u64_u32 v[27:28], null, v48, s6, v[5:6]
	v_and_b32_e32 v28, 0xffff, v29
	v_mul_lo_u16 v29, 0xf1, v32
	v_lshlrev_b64_e32 v[24:25], 2, v[24:25]
	s_wait_alu 0xfffd
	v_add_co_ci_u32_e64 v23, null, s5, v23, vcc_lo
	v_add_nc_u32_e32 v49, v48, v28
	v_lshrrev_b16 v50, 13, v29
	v_ashrrev_i32_e32 v28, 31, v27
	v_add_co_u32 v24, vcc_lo, s4, v24
	s_delay_alu instid0(VALU_DEP_4)
	v_mad_co_u64_u32 v[29:30], null, v49, s6, v[6:7]
	v_and_b32_e32 v30, 0xffff, v31
	v_mul_lo_u16 v31, v50, 34
	v_lshlrev_b64_e32 v[27:28], 2, v[27:28]
	s_wait_alu 0xfffd
	v_add_co_ci_u32_e64 v25, null, s5, v25, vcc_lo
	v_add_nc_u32_e32 v51, v49, v30
	v_sub_nc_u16 v35, v32, v31
	v_ashrrev_i32_e32 v30, 31, v29
	v_add_co_u32 v27, vcc_lo, s4, v27
	s_delay_alu instid0(VALU_DEP_4) | instskip(NEXT) | instid1(VALU_DEP_4)
	v_add_nc_u32_e32 v52, v51, v36
	v_and_b32_e32 v33, 0xff, v35
	v_mad_co_u64_u32 v[31:32], null, v51, s6, v[7:8]
	v_lshlrev_b64_e32 v[29:30], 2, v[29:30]
	s_delay_alu instid0(VALU_DEP_4) | instskip(NEXT) | instid1(VALU_DEP_4)
	v_add_nc_u32_e32 v53, v52, v34
	v_or_b32_e32 v39, 0x80, v33
	s_wait_alu 0xfffd
	v_add_co_ci_u32_e64 v28, null, s5, v28, vcc_lo
	v_lshlrev_b32_e32 v2, 2, v2
	v_mad_co_u64_u32 v[36:37], null, v53, s6, v[9:10]
	v_mul_lo_u16 v35, 0xf1, v39
	v_ashrrev_i32_e32 v32, 31, v31
	v_add_co_u32 v29, vcc_lo, s4, v29
	s_wait_alu 0xfffd
	v_add_co_ci_u32_e64 v30, null, s5, v30, vcc_lo
	v_lshrrev_b16 v54, 13, v35
	v_mad_co_u64_u32 v[34:35], null, v52, s6, v[8:9]
	v_and_b32_e32 v35, 0xffff, v38
	v_lshlrev_b64_e32 v[31:32], 2, v[31:32]
	s_delay_alu instid0(VALU_DEP_4)
	v_mul_lo_u16 v37, v54, 34
	v_lshlrev_b32_e32 v4, 2, v4
	v_lshlrev_b32_e32 v5, 2, v5
	v_add_nc_u32_e32 v55, v53, v35
	v_ashrrev_i32_e32 v35, 31, v34
	v_sub_nc_u16 v56, v39, v37
	v_add_co_u32 v31, vcc_lo, s4, v31
	s_delay_alu instid0(VALU_DEP_4) | instskip(SKIP_1) | instid1(VALU_DEP_4)
	v_mad_co_u64_u32 v[38:39], null, v55, s6, v[10:11]
	v_and_b32_e32 v39, 0xffff, v40
	v_and_b32_e32 v40, 0xff, v56
	s_wait_alu 0xfffd
	v_add_co_ci_u32_e64 v32, null, s5, v32, vcc_lo
	s_clause 0x7
	global_load_b32 v56, v[15:16], off
	global_load_b32 v57, v[17:18], off
	;; [unrolled: 1-line block ×8, first 2 shown]
	v_add_nc_u32_e32 v63, v55, v39
	v_or_b32_e32 v24, 0x80, v40
	v_ashrrev_i32_e32 v37, 31, v36
	v_ashrrev_i32_e32 v39, 31, v38
	v_lshlrev_b64_e32 v[15:16], 2, v[34:35]
	v_mad_co_u64_u32 v[20:21], null, v63, s6, v[11:12]
	v_mul_lo_u16 v21, 0xf1, v24
	v_lshlrev_b64_e32 v[17:18], 2, v[36:37]
	v_lshlrev_b64_e32 v[22:23], 2, v[38:39]
	v_add_co_u32 v15, vcc_lo, s4, v15
	s_delay_alu instid0(VALU_DEP_4) | instskip(SKIP_4) | instid1(VALU_DEP_3)
	v_lshrrev_b16 v30, 13, v21
	v_ashrrev_i32_e32 v21, 31, v20
	s_wait_alu 0xfffd
	v_add_co_ci_u32_e64 v16, null, s5, v16, vcc_lo
	v_add_co_u32 v17, vcc_lo, s4, v17
	v_lshlrev_b64_e32 v[20:21], 2, v[20:21]
	s_wait_alu 0xfffd
	v_add_co_ci_u32_e64 v18, null, s5, v18, vcc_lo
	v_add_co_u32 v22, vcc_lo, s4, v22
	s_wait_alu 0xfffd
	v_add_co_ci_u32_e64 v23, null, s5, v23, vcc_lo
	v_add_co_u32 v20, vcc_lo, s4, v20
	s_wait_alu 0xfffd
	v_add_co_ci_u32_e64 v21, null, s5, v21, vcc_lo
	v_and_b32_e32 v25, 0xffff, v41
	v_and_b32_e32 v28, 0xffff, v42
	s_clause 0x3
	global_load_b32 v38, v[15:16], off
	global_load_b32 v39, v[17:18], off
	;; [unrolled: 1-line block ×4, first 2 shown]
	v_mul_lo_u16 v27, v30, 34
	v_lshlrev_b32_e32 v6, 2, v6
	v_add_nc_u32_e32 v36, v63, v25
	s_delay_alu instid0(VALU_DEP_3) | instskip(NEXT) | instid1(VALU_DEP_2)
	v_sub_nc_u16 v27, v24, v27
	v_mad_co_u64_u32 v[24:25], null, v36, s6, v[12:13]
	v_add_nc_u32_e32 v37, v36, v28
	s_delay_alu instid0(VALU_DEP_3) | instskip(SKIP_1) | instid1(VALU_DEP_3)
	v_and_b32_e32 v27, 0xff, v27
	v_mul_u32_u24_e32 v13, 0x88, v13
	v_mad_co_u64_u32 v[28:29], null, v37, s6, v[19:20]
	s_delay_alu instid0(VALU_DEP_3)
	v_or_b32_e32 v31, 0x80, v27
	v_ashrrev_i32_e32 v25, 31, v24
	v_and_b32_e32 v29, 0xffff, v46
	v_add3_u32 v13, 0, v13, v14
	v_mul_u32_u24_e32 v14, 0x88, v48
	v_mul_lo_u16 v34, 0xf1, v31
	v_lshlrev_b64_e32 v[15:16], 2, v[24:25]
	v_add_nc_u32_e32 v46, v37, v29
	v_ashrrev_i32_e32 v29, 31, v28
	s_delay_alu instid0(VALU_DEP_4) | instskip(NEXT) | instid1(VALU_DEP_3)
	v_lshrrev_b16 v25, 13, v34
	v_mad_co_u64_u32 v[17:18], null, v46, s6, v[26:27]
	v_and_b32_e32 v18, 0xffff, v50
	s_delay_alu instid0(VALU_DEP_3)
	v_mul_lo_u16 v22, v25, 34
	v_lshlrev_b64_e32 v[20:21], 2, v[28:29]
	v_and_b32_e32 v28, 0xffff, v54
	v_and_b32_e32 v25, 0xffff, v25
	v_add_nc_u32_e32 v50, v46, v18
	v_sub_nc_u16 v24, v31, v22
	v_ashrrev_i32_e32 v18, 31, v17
	v_add_co_u32 v15, vcc_lo, s4, v15
	s_delay_alu instid0(VALU_DEP_4) | instskip(NEXT) | instid1(VALU_DEP_4)
	v_mad_co_u64_u32 v[22:23], null, v50, s6, v[33:34]
	v_and_b32_e32 v24, 0xff, v24
	v_add_nc_u32_e32 v54, v50, v28
	v_and_b32_e32 v28, 0xffff, v30
	v_lshlrev_b64_e32 v[17:18], 2, v[17:18]
	s_wait_alu 0xfffd
	v_add_co_ci_u32_e64 v16, null, s5, v16, vcc_lo
	v_or_b32_e32 v34, 0x80, v24
	v_add_nc_u32_e32 v64, v54, v28
	v_ashrrev_i32_e32 v23, 31, v22
	v_add_co_u32 v20, vcc_lo, s4, v20
	s_delay_alu instid0(VALU_DEP_4)
	v_mul_lo_u16 v29, 0xf1, v34
	s_wait_alu 0xfffd
	v_add_co_ci_u32_e64 v21, null, s5, v21, vcc_lo
	v_lshlrev_b64_e32 v[22:23], 2, v[22:23]
	v_add_co_u32 v17, vcc_lo, s4, v17
	v_lshrrev_b16 v35, 13, v29
	v_add_nc_u32_e32 v65, v64, v25
	s_wait_alu 0xfffd
	v_add_co_ci_u32_e64 v18, null, s5, v18, vcc_lo
	v_add_co_u32 v22, vcc_lo, s4, v22
	v_and_b32_e32 v25, 0xffff, v35
	s_wait_alu 0xfffd
	v_add_co_ci_u32_e64 v23, null, s5, v23, vcc_lo
	s_delay_alu instid0(VALU_DEP_2) | instskip(SKIP_2) | instid1(VALU_DEP_1)
	v_add_nc_u32_e32 v67, v65, v25
	s_wait_loadcnt 0x1
	v_mad_co_u64_u32 v[28:29], null, v54, s6, v[40:41]
	v_mad_co_u64_u32 v[30:31], null, v64, s6, v[27:28]
	v_mul_lo_u16 v31, v35, 34
	v_ashrrev_i32_e32 v29, 31, v28
	s_delay_alu instid0(VALU_DEP_2) | instskip(SKIP_2) | instid1(VALU_DEP_3)
	v_sub_nc_u16 v66, v34, v31
	v_mad_co_u64_u32 v[34:35], null, v65, s6, v[24:25]
	v_ashrrev_i32_e32 v31, 31, v30
	v_and_b32_e32 v25, 0xff, v66
	s_clause 0x3
	global_load_b32 v66, v[15:16], off
	global_load_b32 v68, v[20:21], off
	;; [unrolled: 1-line block ×4, first 2 shown]
	v_lshlrev_b64_e32 v[15:16], 2, v[28:29]
	v_lshlrev_b64_e32 v[20:21], 2, v[30:31]
	v_ashrrev_i32_e32 v35, 31, v34
	v_mad_co_u64_u32 v[17:18], null, v67, s6, v[25:26]
	s_delay_alu instid0(VALU_DEP_4) | instskip(NEXT) | instid1(VALU_DEP_3)
	v_add_co_u32 v15, vcc_lo, s4, v15
	v_lshlrev_b64_e32 v[22:23], 2, v[34:35]
	s_wait_alu 0xfffd
	v_add_co_ci_u32_e64 v16, null, s5, v16, vcc_lo
	s_delay_alu instid0(VALU_DEP_4) | instskip(SKIP_3) | instid1(VALU_DEP_3)
	v_ashrrev_i32_e32 v18, 31, v17
	v_add_co_u32 v20, vcc_lo, s4, v20
	s_wait_alu 0xfffd
	v_add_co_ci_u32_e64 v21, null, s5, v21, vcc_lo
	v_lshlrev_b64_e32 v[17:18], 2, v[17:18]
	v_add_co_u32 v22, vcc_lo, s4, v22
	s_wait_alu 0xfffd
	v_add_co_ci_u32_e64 v23, null, s5, v23, vcc_lo
	s_delay_alu instid0(VALU_DEP_3)
	v_add_co_u32 v17, vcc_lo, s4, v17
	s_wait_alu 0xfffd
	v_add_co_ci_u32_e64 v18, null, s5, v18, vcc_lo
	s_clause 0x3
	global_load_b32 v15, v[15:16], off
	global_load_b32 v16, v[20:21], off
	;; [unrolled: 1-line block ×4, first 2 shown]
	v_mul_u32_u24_e32 v18, 0x88, v43
	v_mul_u32_u24_e32 v21, 0x88, v44
	s_delay_alu instid0(VALU_DEP_2) | instskip(NEXT) | instid1(VALU_DEP_2)
	v_add3_u32 v1, 0, v18, v1
	v_add3_u32 v2, 0, v21, v2
	ds_store_b32 v13, v56
	ds_store_b32 v1, v57
	;; [unrolled: 1-line block ×3, first 2 shown]
	v_mul_u32_u24_e32 v1, 0x88, v45
	v_lshlrev_b32_e32 v2, 2, v3
	v_mul_u32_u24_e32 v3, 0x88, v47
	v_mul_lo_u32 v13, 0x88, v49
	s_delay_alu instid0(VALU_DEP_3) | instskip(NEXT) | instid1(VALU_DEP_3)
	v_add3_u32 v1, 0, v1, v2
	v_add3_u32 v2, 0, v3, v4
	v_mul_lo_u32 v3, 0x88, v51
	v_add3_u32 v4, 0, v14, v5
	v_add3_u32 v5, 0, v13, v6
	v_lshlrev_b32_e32 v6, 2, v7
	ds_store_b32 v1, v59
	ds_store_b32 v2, v60
	;; [unrolled: 1-line block ×4, first 2 shown]
	v_mul_lo_u32 v2, 0x88, v52
	v_mul_lo_u32 v4, 0x88, v53
	v_lshlrev_b32_e32 v5, 2, v9
	v_add3_u32 v1, 0, v3, v6
	v_lshlrev_b32_e32 v3, 2, v8
	v_mul_lo_u32 v6, 0x88, v55
	v_mul_lo_u32 v7, 0x88, v63
	v_lshlrev_b32_e32 v8, 2, v11
	ds_store_b32 v1, v32
	v_lshlrev_b32_e32 v1, 2, v10
	v_add3_u32 v2, 0, v2, v3
	v_add3_u32 v3, 0, v4, v5
	v_mul_lo_u32 v4, 0x88, v36
	v_lshlrev_b32_e32 v9, 2, v24
	v_add3_u32 v1, 0, v6, v1
	v_lshlrev_b32_e32 v6, 2, v12
	v_add3_u32 v5, 0, v7, v8
	ds_store_b32 v2, v38
	ds_store_b32 v3, v39
	;; [unrolled: 1-line block ×3, first 2 shown]
	s_wait_loadcnt 0x8
	ds_store_b32 v5, v42
	v_mul_lo_u32 v2, 0x88, v37
	v_add3_u32 v1, 0, v4, v6
	v_mul_lo_u32 v5, 0x88, v50
	v_mul_lo_u32 v3, 0x88, v46
	v_lshlrev_b32_e32 v4, 2, v19
	v_or_b32_e32 v7, 0x80, v25
	v_lshlrev_b32_e32 v6, 2, v26
	v_lshlrev_b32_e32 v8, 2, v27
	v_lshlrev_b32_e32 v10, 2, v25
	v_add3_u32 v2, 0, v2, v4
	v_mul_lo_u32 v4, 0x88, v54
	v_add3_u32 v3, 0, v3, v6
	v_lshlrev_b32_e32 v6, 2, v40
	s_wait_loadcnt 0x7
	ds_store_b32 v1, v66
	v_lshlrev_b32_e32 v1, 2, v33
	s_delay_alu instid0(VALU_DEP_1)
	v_add3_u32 v1, 0, v5, v1
	v_mul_lo_u16 v5, 0xf1, v7
	s_wait_loadcnt 0x6
	ds_store_b32 v2, v68
	s_wait_loadcnt 0x5
	ds_store_b32 v3, v69
	s_wait_loadcnt 0x4
	ds_store_b32 v1, v70
	v_add3_u32 v3, 0, v4, v6
	v_mul_lo_u32 v4, 0x88, v64
	v_lshrrev_b16 v1, 13, v5
	v_mul_lo_u32 v5, 0x88, v65
	v_mul_lo_u32 v6, 0x88, v67
	s_delay_alu instid0(VALU_DEP_3) | instskip(SKIP_3) | instid1(VALU_DEP_4)
	v_mul_lo_u16 v2, v1, 34
	v_and_b32_e32 v1, 0xffff, v1
	v_add3_u32 v4, 0, v4, v8
	v_add3_u32 v5, 0, v5, v9
	v_sub_nc_u16 v7, v7, v2
	s_delay_alu instid0(VALU_DEP_4)
	v_add_nc_u32_e32 v2, v67, v1
	v_add3_u32 v6, 0, v6, v10
	s_wait_loadcnt 0x3
	ds_store_b32 v3, v15
	s_wait_loadcnt 0x2
	ds_store_b32 v4, v16
	s_wait_loadcnt 0x1
	ds_store_b32 v5, v20
	s_wait_loadcnt 0x0
	ds_store_b32 v6, v17
	v_and_b32_e32 v1, 0xff, v7
	v_cmpx_gt_u32_e32 0x80, v2
	s_cbranch_execz .LBB1_2
; %bb.1:
	s_delay_alu instid0(VALU_DEP_2) | instskip(SKIP_1) | instid1(VALU_DEP_2)
	v_mad_co_u64_u32 v[3:4], null, v2, s6, v[1:2]
	v_lshlrev_b32_e32 v5, 2, v1
	v_ashrrev_i32_e32 v4, 31, v3
	s_delay_alu instid0(VALU_DEP_1) | instskip(NEXT) | instid1(VALU_DEP_1)
	v_lshlrev_b64_e32 v[3:4], 2, v[3:4]
	v_add_co_u32 v3, vcc_lo, s4, v3
	s_wait_alu 0xfffd
	s_delay_alu instid0(VALU_DEP_2) | instskip(SKIP_2) | instid1(VALU_DEP_1)
	v_add_co_ci_u32_e64 v4, null, s5, v4, vcc_lo
	global_load_b32 v3, v[3:4], off
	v_mul_lo_u32 v4, 0x88, v2
	v_add3_u32 v4, 0, v4, v5
	s_wait_loadcnt 0x0
	ds_store_b32 v4, v3
.LBB1_2:
	s_or_b32 exec_lo, exec_lo, s8
	s_delay_alu instid0(VALU_DEP_2) | instskip(SKIP_1) | instid1(VALU_DEP_1)
	v_or_b32_e32 v1, 0x80, v1
	s_mov_b32 s8, exec_lo
	v_mul_lo_u16 v3, 0xf1, v1
	s_delay_alu instid0(VALU_DEP_1) | instskip(NEXT) | instid1(VALU_DEP_1)
	v_lshrrev_b16 v3, 13, v3
	v_mul_lo_u16 v4, v3, 34
	v_and_b32_e32 v3, 0xffff, v3
	s_delay_alu instid0(VALU_DEP_2) | instskip(NEXT) | instid1(VALU_DEP_2)
	v_sub_nc_u16 v1, v1, v4
	v_add_nc_u32_e32 v2, v2, v3
	s_delay_alu instid0(VALU_DEP_2) | instskip(NEXT) | instid1(VALU_DEP_2)
	v_and_b32_e32 v1, 0xff, v1
	v_cmpx_gt_u32_e32 0x80, v2
	s_cbranch_execz .LBB1_4
; %bb.3:
	s_delay_alu instid0(VALU_DEP_2) | instskip(SKIP_1) | instid1(VALU_DEP_2)
	v_mad_co_u64_u32 v[3:4], null, v2, s6, v[1:2]
	v_lshlrev_b32_e32 v5, 2, v1
	v_ashrrev_i32_e32 v4, 31, v3
	s_delay_alu instid0(VALU_DEP_1) | instskip(NEXT) | instid1(VALU_DEP_1)
	v_lshlrev_b64_e32 v[3:4], 2, v[3:4]
	v_add_co_u32 v3, vcc_lo, s4, v3
	s_wait_alu 0xfffd
	s_delay_alu instid0(VALU_DEP_2) | instskip(SKIP_2) | instid1(VALU_DEP_1)
	v_add_co_ci_u32_e64 v4, null, s5, v4, vcc_lo
	global_load_b32 v3, v[3:4], off
	v_mul_lo_u32 v4, 0x88, v2
	v_add3_u32 v4, 0, v4, v5
	s_wait_loadcnt 0x0
	ds_store_b32 v4, v3
.LBB1_4:
	s_or_b32 exec_lo, exec_lo, s8
	s_delay_alu instid0(VALU_DEP_2) | instskip(SKIP_1) | instid1(VALU_DEP_1)
	v_or_b32_e32 v1, 0x80, v1
	s_mov_b32 s8, exec_lo
	v_mul_lo_u16 v3, 0xf1, v1
	s_delay_alu instid0(VALU_DEP_1) | instskip(NEXT) | instid1(VALU_DEP_1)
	v_lshrrev_b16 v3, 13, v3
	v_mul_lo_u16 v4, v3, 34
	v_and_b32_e32 v3, 0xffff, v3
	s_delay_alu instid0(VALU_DEP_2) | instskip(NEXT) | instid1(VALU_DEP_2)
	v_sub_nc_u16 v1, v1, v4
	v_add_nc_u32_e32 v2, v2, v3
	s_delay_alu instid0(VALU_DEP_2) | instskip(NEXT) | instid1(VALU_DEP_2)
	;; [unrolled: 33-line block ×6, first 2 shown]
	v_and_b32_e32 v1, 0xff, v1
	v_cmpx_gt_u32_e32 0x80, v2
	s_cbranch_execz .LBB1_14
; %bb.13:
	s_delay_alu instid0(VALU_DEP_2) | instskip(SKIP_1) | instid1(VALU_DEP_2)
	v_mad_co_u64_u32 v[3:4], null, v2, s6, v[1:2]
	v_lshlrev_b32_e32 v5, 2, v1
	v_ashrrev_i32_e32 v4, 31, v3
	s_delay_alu instid0(VALU_DEP_1) | instskip(NEXT) | instid1(VALU_DEP_1)
	v_lshlrev_b64_e32 v[3:4], 2, v[3:4]
	v_add_co_u32 v3, vcc_lo, s4, v3
	s_wait_alu 0xfffd
	s_delay_alu instid0(VALU_DEP_2) | instskip(SKIP_2) | instid1(VALU_DEP_1)
	v_add_co_ci_u32_e64 v4, null, s5, v4, vcc_lo
	global_load_b32 v3, v[3:4], off
	v_mul_lo_u32 v4, 0x88, v2
	v_add3_u32 v4, 0, v4, v5
	s_wait_loadcnt 0x0
	ds_store_b32 v4, v3
.LBB1_14:
	s_or_b32 exec_lo, exec_lo, s8
	s_delay_alu instid0(SALU_CYCLE_1)
	s_mov_b32 s8, exec_lo
	v_cmpx_gt_u32_e32 0x380, v0
	s_cbranch_execz .LBB1_35
; %bb.15:
	v_or_b32_e32 v1, 0x80, v1
	s_mov_b32 s9, exec_lo
	s_delay_alu instid0(VALU_DEP_1) | instskip(NEXT) | instid1(VALU_DEP_1)
	v_mul_lo_u16 v3, 0xf1, v1
	v_lshrrev_b16 v3, 13, v3
	s_delay_alu instid0(VALU_DEP_1) | instskip(SKIP_1) | instid1(VALU_DEP_2)
	v_mul_lo_u16 v4, v3, 34
	v_and_b32_e32 v3, 0xffff, v3
	v_sub_nc_u16 v1, v1, v4
	s_delay_alu instid0(VALU_DEP_2) | instskip(NEXT) | instid1(VALU_DEP_2)
	v_add_nc_u32_e32 v2, v2, v3
	v_and_b32_e32 v1, 0xff, v1
	s_delay_alu instid0(VALU_DEP_2)
	v_cmpx_gt_u32_e32 0x80, v2
	s_cbranch_execz .LBB1_17
; %bb.16:
	s_delay_alu instid0(VALU_DEP_2) | instskip(SKIP_1) | instid1(VALU_DEP_2)
	v_mad_co_u64_u32 v[3:4], null, v2, s6, v[1:2]
	v_lshlrev_b32_e32 v5, 2, v1
	v_ashrrev_i32_e32 v4, 31, v3
	s_delay_alu instid0(VALU_DEP_1) | instskip(NEXT) | instid1(VALU_DEP_1)
	v_lshlrev_b64_e32 v[3:4], 2, v[3:4]
	v_add_co_u32 v3, vcc_lo, s4, v3
	s_wait_alu 0xfffd
	s_delay_alu instid0(VALU_DEP_2) | instskip(SKIP_2) | instid1(VALU_DEP_1)
	v_add_co_ci_u32_e64 v4, null, s5, v4, vcc_lo
	global_load_b32 v3, v[3:4], off
	v_mul_lo_u32 v4, 0x88, v2
	v_add3_u32 v4, 0, v4, v5
	s_wait_loadcnt 0x0
	ds_store_b32 v4, v3
.LBB1_17:
	s_or_b32 exec_lo, exec_lo, s9
	v_cmp_gt_u32_e32 vcc_lo, 0x300, v0
	s_and_b32 exec_lo, exec_lo, vcc_lo
	s_cbranch_execz .LBB1_35
; %bb.18:
	v_or_b32_e32 v1, 0x80, v1
	s_mov_b32 s9, exec_lo
	s_delay_alu instid0(VALU_DEP_1) | instskip(NEXT) | instid1(VALU_DEP_1)
	v_mul_lo_u16 v3, 0xf1, v1
	v_lshrrev_b16 v3, 13, v3
	s_delay_alu instid0(VALU_DEP_1) | instskip(SKIP_1) | instid1(VALU_DEP_2)
	v_mul_lo_u16 v4, v3, 34
	v_and_b32_e32 v3, 0xffff, v3
	v_sub_nc_u16 v1, v1, v4
	s_delay_alu instid0(VALU_DEP_2) | instskip(NEXT) | instid1(VALU_DEP_2)
	v_add_nc_u32_e32 v2, v2, v3
	v_and_b32_e32 v1, 0xff, v1
	s_delay_alu instid0(VALU_DEP_2)
	v_cmpx_gt_u32_e32 0x80, v2
	s_cbranch_execz .LBB1_20
; %bb.19:
	s_delay_alu instid0(VALU_DEP_2) | instskip(SKIP_1) | instid1(VALU_DEP_2)
	v_mad_co_u64_u32 v[3:4], null, v2, s6, v[1:2]
	v_lshlrev_b32_e32 v5, 2, v1
	v_ashrrev_i32_e32 v4, 31, v3
	s_delay_alu instid0(VALU_DEP_1) | instskip(NEXT) | instid1(VALU_DEP_1)
	v_lshlrev_b64_e32 v[3:4], 2, v[3:4]
	v_add_co_u32 v3, vcc_lo, s4, v3
	s_wait_alu 0xfffd
	s_delay_alu instid0(VALU_DEP_2) | instskip(SKIP_2) | instid1(VALU_DEP_1)
	v_add_co_ci_u32_e64 v4, null, s5, v4, vcc_lo
	global_load_b32 v3, v[3:4], off
	v_mul_lo_u32 v4, 0x88, v2
	v_add3_u32 v4, 0, v4, v5
	s_wait_loadcnt 0x0
	ds_store_b32 v4, v3
.LBB1_20:
	s_or_b32 exec_lo, exec_lo, s9
	v_cmp_gt_u32_e32 vcc_lo, 0x280, v0
	s_and_b32 exec_lo, exec_lo, vcc_lo
	;; [unrolled: 37-line block ×6, first 2 shown]
	s_cbranch_execz .LBB1_35
; %bb.33:
	v_or_b32_e32 v3, 0x80, v1
	s_delay_alu instid0(VALU_DEP_1) | instskip(NEXT) | instid1(VALU_DEP_1)
	v_mul_lo_u16 v1, 0xf1, v3
	v_lshrrev_b16 v4, 13, v1
	s_delay_alu instid0(VALU_DEP_1) | instskip(NEXT) | instid1(VALU_DEP_1)
	v_and_b32_e32 v1, 0xffff, v4
	v_add_nc_u32_e32 v1, v2, v1
	s_delay_alu instid0(VALU_DEP_1)
	v_cmp_gt_u32_e32 vcc_lo, 0x80, v1
	s_and_b32 exec_lo, exec_lo, vcc_lo
	s_cbranch_execz .LBB1_35
; %bb.34:
	v_mul_lo_u16 v2, v4, 34
	s_delay_alu instid0(VALU_DEP_1) | instskip(NEXT) | instid1(VALU_DEP_1)
	v_sub_nc_u16 v2, v3, v2
	v_and_b32_e32 v2, 0xff, v2
	s_delay_alu instid0(VALU_DEP_1) | instskip(SKIP_2) | instid1(VALU_DEP_3)
	v_mad_co_u64_u32 v[3:4], null, v1, s6, v[2:3]
	v_mul_lo_u32 v1, 0x88, v1
	v_lshlrev_b32_e32 v2, 2, v2
	v_ashrrev_i32_e32 v4, 31, v3
	s_delay_alu instid0(VALU_DEP_2) | instskip(NEXT) | instid1(VALU_DEP_2)
	v_add3_u32 v1, 0, v1, v2
	v_lshlrev_b64_e32 v[3:4], 2, v[3:4]
	s_delay_alu instid0(VALU_DEP_1) | instskip(SKIP_1) | instid1(VALU_DEP_2)
	v_add_co_u32 v3, vcc_lo, s4, v3
	s_wait_alu 0xfffd
	v_add_co_ci_u32_e64 v4, null, s5, v4, vcc_lo
	global_load_b32 v3, v[3:4], off
	s_wait_loadcnt 0x0
	ds_store_b32 v1, v3
.LBB1_35:
	s_or_b32 exec_lo, exec_lo, s8
	s_clause 0x1
	s_load_b128 s[8:11], s[0:1], 0x8
	s_load_b64 s[4:5], s[0:1], 0x28
	s_ashr_i32 s6, s7, 2
	s_ashr_i32 s15, s7, 31
	s_wait_alu 0xfffe
	v_mul_lo_u32 v1, s6, v0
	s_mov_b32 s14, s7
	s_wait_dscnt 0x0
	s_mul_u64 s[6:7], s[2:3], s[14:15]
	s_barrier_signal -1
	s_barrier_wait -1
	global_inv scope:SCOPE_SE
	v_lshlrev_b32_e32 v5, 2, v0
	v_ashrrev_i32_e32 v2, 31, v1
	s_delay_alu instid0(VALU_DEP_1)
	v_lshlrev_b64_e32 v[1:2], 2, v[1:2]
	s_wait_kmcnt 0x0
	s_wait_alu 0xfffe
	s_add_nc_u64 s[6:7], s[8:9], s[6:7]
	s_cmp_eq_u64 s[10:11], 0
	s_wait_alu 0xfffe
	v_add_co_u32 v1, vcc_lo, s6, v1
	s_wait_alu 0xfffd
	v_add_co_ci_u32_e64 v2, null, s7, v2, vcc_lo
	global_load_b96 v[1:3], v[1:2], off
	s_cbranch_scc1 .LBB1_37
; %bb.36:
	s_lshl_b32 s6, s2, 2
	s_mov_b32 s7, 0
	s_wait_alu 0xfffe
	s_add_nc_u64 s[6:7], s[10:11], s[6:7]
	global_load_b32 v8, v5, s[6:7]
	s_branch .LBB1_38
.LBB1_37:
	v_mov_b32_e32 v8, 0
.LBB1_38:
	s_load_b64 s[6:7], s[0:1], 0x40
	s_wait_kmcnt 0x0
	s_sub_nc_u64 s[6:7], s[6:7], s[12:13]
	s_wait_alu 0xfffe
	v_cmp_lt_i64_e64 s8, s[6:7], 1
	s_and_b32 vcc_lo, exec_lo, s8
	s_wait_alu 0xfffe
	s_cbranch_vccnz .LBB1_41
; %bb.39:
	s_load_b96 s[8:10], s[0:1], 0x30
	v_mad_u32_u24 v0, 0x88, v0, 0
	v_cmp_lt_u64_e64 s16, s[6:7], 32
	ds_load_b32 v4, v0
	s_wait_kmcnt 0x0
	s_mul_i32 s0, s10, ttmp9
	s_ashr_i32 s11, s9, 31
	s_mov_b32 s10, s9
	s_ashr_i32 s1, s0, 31
	s_ashr_i32 s15, s8, 31
	s_mov_b32 s14, s8
	s_mul_u64 s[10:11], s[12:13], s[10:11]
	s_add_nc_u64 s[0:1], s[4:5], s[0:1]
	s_mul_u64 s[2:3], s[2:3], s[14:15]
	s_add_nc_u64 s[0:1], s[0:1], s[10:11]
	s_ashr_i32 s4, s9, 2
	s_add_nc_u64 s[0:1], s[0:1], s[2:3]
	s_wait_alu 0xfffe
	s_ashr_i32 s5, s4, 31
	v_add_co_u32 v6, s0, s0, v5
	s_wait_alu 0xf1ff
	v_add_co_ci_u32_e64 v7, null, s1, 0, s0
	s_and_b32 s0, s16, exec_lo
	s_cselect_b32 s1, s7, 0
	s_cselect_b32 s0, s6, 32
	s_wait_alu 0xfffe
	s_lshl_b64 s[2:3], s[4:5], 2
.LBB1_40:                               ; =>This Inner Loop Header: Depth=1
	s_wait_loadcnt_dscnt 0x0
	v_fma_f32 v9, v1, v4, 0
	ds_load_2addr_b32 v[4:5], v0 offset0:1 offset1:2
	s_add_nc_u64 s[0:1], s[0:1], -1
	v_add_nc_u32_e32 v0, 4, v0
	s_wait_alu 0xfffe
	s_cmp_lg_u64 s[0:1], 0
	s_wait_dscnt 0x0
	v_fmac_f32_e32 v9, v2, v4
	s_delay_alu instid0(VALU_DEP_1) | instskip(NEXT) | instid1(VALU_DEP_1)
	v_fmac_f32_e32 v9, v3, v5
	v_add_f32_e32 v5, v8, v9
	s_delay_alu instid0(VALU_DEP_1) | instskip(SKIP_1) | instid1(VALU_DEP_2)
	v_mul_f32_e32 v9, 0xbfb8aa3b, v5
	v_cmp_nlt_f32_e32 vcc_lo, 0x42ce8ed0, v5
	v_fma_f32 v10, 0xbfb8aa3b, v5, -v9
	v_rndne_f32_e32 v11, v9
	s_delay_alu instid0(VALU_DEP_1) | instskip(NEXT) | instid1(VALU_DEP_1)
	v_dual_fmac_f32 v10, 0xb2a5705f, v5 :: v_dual_sub_f32 v9, v9, v11
	v_add_f32_e32 v9, v9, v10
	v_cvt_i32_f32_e32 v10, v11
	s_delay_alu instid0(VALU_DEP_2) | instskip(NEXT) | instid1(TRANS32_DEP_1)
	v_exp_f32_e32 v9, v9
	v_ldexp_f32 v9, v9, v10
	s_wait_alu 0xfffd
	s_delay_alu instid0(VALU_DEP_1) | instskip(SKIP_2) | instid1(VALU_DEP_2)
	v_cndmask_b32_e32 v9, 0, v9, vcc_lo
	v_cmp_ngt_f32_e32 vcc_lo, 0xc2b17218, v5
	s_wait_alu 0xfffd
	v_cndmask_b32_e32 v9, 0x7f800000, v9, vcc_lo
	s_delay_alu instid0(VALU_DEP_1) | instskip(NEXT) | instid1(VALU_DEP_1)
	v_add_f32_e32 v9, 1.0, v9
	v_div_scale_f32 v10, null, v9, v9, v5
	v_div_scale_f32 v12, vcc_lo, v5, v9, v5
	s_delay_alu instid0(VALU_DEP_2) | instskip(NEXT) | instid1(TRANS32_DEP_1)
	v_rcp_f32_e32 v11, v10
	v_fma_f32 v13, -v10, v11, 1.0
	s_delay_alu instid0(VALU_DEP_1) | instskip(NEXT) | instid1(VALU_DEP_1)
	v_fmac_f32_e32 v11, v13, v11
	v_mul_f32_e32 v13, v12, v11
	s_delay_alu instid0(VALU_DEP_1) | instskip(NEXT) | instid1(VALU_DEP_1)
	v_fma_f32 v14, -v10, v13, v12
	v_fmac_f32_e32 v13, v14, v11
	s_delay_alu instid0(VALU_DEP_1) | instskip(SKIP_1) | instid1(VALU_DEP_1)
	v_fma_f32 v10, -v10, v13, v12
	s_wait_alu 0xfffd
	v_div_fmas_f32 v10, v10, v11, v13
	s_delay_alu instid0(VALU_DEP_1)
	v_div_fixup_f32 v5, v10, v9, v5
	global_store_b32 v[6:7], v5, off
	v_add_co_u32 v6, vcc_lo, v6, s2
	s_wait_alu 0xfffd
	v_add_co_ci_u32_e64 v7, null, s3, v7, vcc_lo
	s_cbranch_scc1 .LBB1_40
.LBB1_41:
	s_endpgm
	.section	.rodata,"a",@progbits
	.p2align	6, 0x0
	.amdhsa_kernel _ZL23ssm_conv_long_token_f32ILb1ELm128ELm3ELl32EEvPKfS1_S1_iiiiPfiiil
		.amdhsa_group_segment_fixed_size 0
		.amdhsa_private_segment_fixed_size 0
		.amdhsa_kernarg_size 72
		.amdhsa_user_sgpr_count 2
		.amdhsa_user_sgpr_dispatch_ptr 0
		.amdhsa_user_sgpr_queue_ptr 0
		.amdhsa_user_sgpr_kernarg_segment_ptr 1
		.amdhsa_user_sgpr_dispatch_id 0
		.amdhsa_user_sgpr_private_segment_size 0
		.amdhsa_wavefront_size32 1
		.amdhsa_uses_dynamic_stack 0
		.amdhsa_enable_private_segment 0
		.amdhsa_system_sgpr_workgroup_id_x 1
		.amdhsa_system_sgpr_workgroup_id_y 1
		.amdhsa_system_sgpr_workgroup_id_z 1
		.amdhsa_system_sgpr_workgroup_info 0
		.amdhsa_system_vgpr_workitem_id 0
		.amdhsa_next_free_vgpr 71
		.amdhsa_next_free_sgpr 18
		.amdhsa_reserve_vcc 1
		.amdhsa_float_round_mode_32 0
		.amdhsa_float_round_mode_16_64 0
		.amdhsa_float_denorm_mode_32 3
		.amdhsa_float_denorm_mode_16_64 3
		.amdhsa_fp16_overflow 0
		.amdhsa_workgroup_processor_mode 1
		.amdhsa_memory_ordered 1
		.amdhsa_forward_progress 1
		.amdhsa_inst_pref_size 53
		.amdhsa_round_robin_scheduling 0
		.amdhsa_exception_fp_ieee_invalid_op 0
		.amdhsa_exception_fp_denorm_src 0
		.amdhsa_exception_fp_ieee_div_zero 0
		.amdhsa_exception_fp_ieee_overflow 0
		.amdhsa_exception_fp_ieee_underflow 0
		.amdhsa_exception_fp_ieee_inexact 0
		.amdhsa_exception_int_div_zero 0
	.end_amdhsa_kernel
	.section	.text._ZL23ssm_conv_long_token_f32ILb1ELm128ELm3ELl32EEvPKfS1_S1_iiiiPfiiil,"axG",@progbits,_ZL23ssm_conv_long_token_f32ILb1ELm128ELm3ELl32EEvPKfS1_S1_iiiiPfiiil,comdat
.Lfunc_end1:
	.size	_ZL23ssm_conv_long_token_f32ILb1ELm128ELm3ELl32EEvPKfS1_S1_iiiiPfiiil, .Lfunc_end1-_ZL23ssm_conv_long_token_f32ILb1ELm128ELm3ELl32EEvPKfS1_S1_iiiiPfiiil
                                        ; -- End function
	.set _ZL23ssm_conv_long_token_f32ILb1ELm128ELm3ELl32EEvPKfS1_S1_iiiiPfiiil.num_vgpr, 71
	.set _ZL23ssm_conv_long_token_f32ILb1ELm128ELm3ELl32EEvPKfS1_S1_iiiiPfiiil.num_agpr, 0
	.set _ZL23ssm_conv_long_token_f32ILb1ELm128ELm3ELl32EEvPKfS1_S1_iiiiPfiiil.numbered_sgpr, 18
	.set _ZL23ssm_conv_long_token_f32ILb1ELm128ELm3ELl32EEvPKfS1_S1_iiiiPfiiil.num_named_barrier, 0
	.set _ZL23ssm_conv_long_token_f32ILb1ELm128ELm3ELl32EEvPKfS1_S1_iiiiPfiiil.private_seg_size, 0
	.set _ZL23ssm_conv_long_token_f32ILb1ELm128ELm3ELl32EEvPKfS1_S1_iiiiPfiiil.uses_vcc, 1
	.set _ZL23ssm_conv_long_token_f32ILb1ELm128ELm3ELl32EEvPKfS1_S1_iiiiPfiiil.uses_flat_scratch, 0
	.set _ZL23ssm_conv_long_token_f32ILb1ELm128ELm3ELl32EEvPKfS1_S1_iiiiPfiiil.has_dyn_sized_stack, 0
	.set _ZL23ssm_conv_long_token_f32ILb1ELm128ELm3ELl32EEvPKfS1_S1_iiiiPfiiil.has_recursion, 0
	.set _ZL23ssm_conv_long_token_f32ILb1ELm128ELm3ELl32EEvPKfS1_S1_iiiiPfiiil.has_indirect_call, 0
	.section	.AMDGPU.csdata,"",@progbits
; Kernel info:
; codeLenInByte = 6764
; TotalNumSgprs: 20
; NumVgprs: 71
; ScratchSize: 0
; MemoryBound: 0
; FloatMode: 240
; IeeeMode: 1
; LDSByteSize: 0 bytes/workgroup (compile time only)
; SGPRBlocks: 0
; VGPRBlocks: 8
; NumSGPRsForWavesPerEU: 20
; NumVGPRsForWavesPerEU: 71
; Occupancy: 16
; WaveLimiterHint : 0
; COMPUTE_PGM_RSRC2:SCRATCH_EN: 0
; COMPUTE_PGM_RSRC2:USER_SGPR: 2
; COMPUTE_PGM_RSRC2:TRAP_HANDLER: 0
; COMPUTE_PGM_RSRC2:TGID_X_EN: 1
; COMPUTE_PGM_RSRC2:TGID_Y_EN: 1
; COMPUTE_PGM_RSRC2:TGID_Z_EN: 1
; COMPUTE_PGM_RSRC2:TIDIG_COMP_CNT: 0
	.section	.text._ZL12ssm_conv_f32ILb1ELm128ELm4EEvPKfS1_S1_iiiiPfiiil,"axG",@progbits,_ZL12ssm_conv_f32ILb1ELm128ELm4EEvPKfS1_S1_iiiiPfiiil,comdat
	.globl	_ZL12ssm_conv_f32ILb1ELm128ELm4EEvPKfS1_S1_iiiiPfiiil ; -- Begin function _ZL12ssm_conv_f32ILb1ELm128ELm4EEvPKfS1_S1_iiiiPfiiil
	.p2align	8
	.type	_ZL12ssm_conv_f32ILb1ELm128ELm4EEvPKfS1_S1_iiiiPfiiil,@function
_ZL12ssm_conv_f32ILb1ELm128ELm4EEvPKfS1_S1_iiiiPfiiil: ; @_ZL12ssm_conv_f32ILb1ELm128ELm4EEvPKfS1_S1_iiiiPfiiil
; %bb.0:
	s_load_b64 s[2:3], s[0:1], 0x10
	s_mov_b32 s4, ttmp7
	s_ashr_i32 s5, ttmp7, 31
	v_lshlrev_b32_e32 v10, 2, v0
	s_lshl_b64 s[12:13], s[4:5], 7
	s_wait_kmcnt 0x0
	s_cmp_eq_u64 s[2:3], 0
	s_cbranch_scc1 .LBB2_2
; %bb.1:
	s_lshl_b64 s[4:5], s[12:13], 2
	s_delay_alu instid0(SALU_CYCLE_1)
	s_add_nc_u64 s[2:3], s[2:3], s[4:5]
	global_load_b32 v12, v10, s[2:3]
	s_load_b64 s[2:3], s[0:1], 0x40
	s_wait_kmcnt 0x0
	v_cmp_lt_i64_e64 s4, s[2:3], 1
	s_and_b32 vcc_lo, exec_lo, s4
	s_cbranch_vccz .LBB2_3
	s_branch .LBB2_6
.LBB2_2:
	v_mov_b32_e32 v12, 0
	s_load_b64 s[2:3], s[0:1], 0x40
	s_wait_kmcnt 0x0
	v_cmp_lt_i64_e64 s4, s[2:3], 1
	s_and_b32 vcc_lo, exec_lo, s4
	s_cbranch_vccnz .LBB2_6
.LBB2_3:
	s_clause 0x1
	s_load_b96 s[8:10], s[0:1], 0x1c
	s_load_b128 s[4:7], s[0:1], 0x0
	s_wait_kmcnt 0x0
	s_ashr_i32 s11, s10, 2
	s_ashr_i32 s14, s8, 2
	v_mul_lo_u32 v1, s11, v0
	v_mul_lo_u32 v3, s14, v0
	s_ashr_i32 s11, s10, 31
	s_mul_i32 s14, s9, ttmp9
	s_ashr_i32 s9, s8, 31
	s_wait_alu 0xfffe
	s_mul_u64 s[10:11], s[12:13], s[10:11]
	s_ashr_i32 s15, s14, 31
	s_mul_u64 s[8:9], s[12:13], s[8:9]
	v_ashrrev_i32_e32 v2, 31, v1
	v_ashrrev_i32_e32 v4, 31, v3
	s_wait_alu 0xfffe
	s_add_nc_u64 s[4:5], s[4:5], s[14:15]
	s_add_nc_u64 s[6:7], s[6:7], s[10:11]
	;; [unrolled: 1-line block ×3, first 2 shown]
	v_lshlrev_b64_e32 v[0:1], 2, v[1:2]
	v_lshlrev_b64_e32 v[2:3], 2, v[3:4]
	s_delay_alu instid0(VALU_DEP_2) | instskip(NEXT) | instid1(VALU_DEP_1)
	v_add_co_u32 v0, vcc_lo, s6, v0
	v_add_co_ci_u32_e64 v1, null, s7, v1, vcc_lo
	s_delay_alu instid0(VALU_DEP_3) | instskip(SKIP_1) | instid1(VALU_DEP_4)
	v_add_co_u32 v8, vcc_lo, s4, v2
	s_wait_alu 0xfffd
	v_add_co_ci_u32_e64 v9, null, s5, v3, vcc_lo
	global_load_b128 v[0:3], v[0:1], off
	global_load_b128 v[4:7], v[8:9], off
	s_clause 0x1
	s_load_b96 s[4:6], s[0:1], 0x30
	s_load_b64 s[0:1], s[0:1], 0x28
	s_wait_kmcnt 0x0
	s_mul_i32 s6, s6, ttmp9
	s_ashr_i32 s9, s4, 31
	s_wait_alu 0xfffe
	s_ashr_i32 s7, s6, 31
	s_mov_b32 s8, s4
	s_wait_alu 0xfffe
	s_add_nc_u64 s[0:1], s[0:1], s[6:7]
	s_mul_u64 s[6:7], s[12:13], s[8:9]
	s_cmp_eq_u64 s[2:3], 1
	s_wait_alu 0xfffe
	s_add_nc_u64 s[8:9], s[0:1], s[6:7]
	s_wait_loadcnt 0x0
	v_fma_f32 v11, v0, v4, 0
	s_delay_alu instid0(VALU_DEP_1) | instskip(NEXT) | instid1(VALU_DEP_1)
	v_fmac_f32_e32 v11, v1, v5
	v_fmac_f32_e32 v11, v2, v6
	s_delay_alu instid0(VALU_DEP_1) | instskip(NEXT) | instid1(VALU_DEP_1)
	v_fmac_f32_e32 v11, v3, v7
	v_add_f32_e32 v11, v12, v11
	s_delay_alu instid0(VALU_DEP_1) | instskip(SKIP_1) | instid1(VALU_DEP_2)
	v_mul_f32_e32 v13, 0xbfb8aa3b, v11
	v_cmp_nlt_f32_e32 vcc_lo, 0x42ce8ed0, v11
	v_fma_f32 v14, 0xbfb8aa3b, v11, -v13
	v_rndne_f32_e32 v15, v13
	s_delay_alu instid0(VALU_DEP_2) | instskip(NEXT) | instid1(VALU_DEP_2)
	v_fmac_f32_e32 v14, 0xb2a5705f, v11
	v_sub_f32_e32 v13, v13, v15
	s_delay_alu instid0(VALU_DEP_1) | instskip(SKIP_1) | instid1(VALU_DEP_2)
	v_add_f32_e32 v13, v13, v14
	v_cvt_i32_f32_e32 v14, v15
	v_exp_f32_e32 v13, v13
	s_delay_alu instid0(TRANS32_DEP_1) | instskip(SKIP_1) | instid1(VALU_DEP_1)
	v_ldexp_f32 v13, v13, v14
	s_wait_alu 0xfffd
	v_cndmask_b32_e32 v13, 0, v13, vcc_lo
	v_cmp_ngt_f32_e32 vcc_lo, 0xc2b17218, v11
	s_wait_alu 0xfffd
	s_delay_alu instid0(VALU_DEP_2) | instskip(NEXT) | instid1(VALU_DEP_1)
	v_cndmask_b32_e32 v13, 0x7f800000, v13, vcc_lo
	v_add_f32_e32 v13, 1.0, v13
	s_delay_alu instid0(VALU_DEP_1) | instskip(NEXT) | instid1(VALU_DEP_1)
	v_div_scale_f32 v14, null, v13, v13, v11
	v_rcp_f32_e32 v15, v14
	s_delay_alu instid0(TRANS32_DEP_1) | instskip(NEXT) | instid1(VALU_DEP_1)
	v_fma_f32 v16, -v14, v15, 1.0
	v_fmac_f32_e32 v15, v16, v15
	v_div_scale_f32 v16, vcc_lo, v11, v13, v11
	s_delay_alu instid0(VALU_DEP_1) | instskip(NEXT) | instid1(VALU_DEP_1)
	v_mul_f32_e32 v17, v16, v15
	v_fma_f32 v18, -v14, v17, v16
	s_delay_alu instid0(VALU_DEP_1) | instskip(NEXT) | instid1(VALU_DEP_1)
	v_fmac_f32_e32 v17, v18, v15
	v_fma_f32 v14, -v14, v17, v16
	s_wait_alu 0xfffd
	s_delay_alu instid0(VALU_DEP_1) | instskip(NEXT) | instid1(VALU_DEP_1)
	v_div_fmas_f32 v14, v14, v15, v17
	v_div_fixup_f32 v11, v14, v13, v11
	global_store_b32 v10, v11, s[8:9]
	s_cbranch_scc1 .LBB2_6
; %bb.4:
	s_ashr_i32 s4, s5, 2
	v_add_co_u32 v8, vcc_lo, v8, 16
	s_wait_alu 0xfffe
	s_ashr_i32 s5, s4, 31
	s_wait_alu 0xfffd
	v_add_co_ci_u32_e64 v9, null, 0, v9, vcc_lo
	s_wait_alu 0xfffe
	s_lshl_b64 s[4:5], s[4:5], 2
	s_mov_b64 s[10:11], 0
	s_wait_alu 0xfffe
	s_add_nc_u64 s[6:7], s[6:7], s[4:5]
	s_wait_alu 0xfffe
	s_add_nc_u64 s[0:1], s[0:1], s[6:7]
	s_add_nc_u64 s[6:7], s[2:3], -1
	v_add_co_u32 v10, s0, s0, v10
	s_wait_alu 0xf1ff
	v_add_co_ci_u32_e64 v11, null, s1, 0, s0
.LBB2_5:                                ; =>This Inner Loop Header: Depth=1
	global_load_b32 v13, v[8:9], off
	s_add_co_i32 s0, s10, 4
	s_add_nc_u64 s[8:9], s[10:11], 1
	s_wait_alu 0xfffe
	s_and_b32 s2, s0, 3
	s_wait_alu 0xfffe
	s_cmp_eq_u32 s2, 3
	s_cselect_b32 vcc_lo, -1, 0
	s_cmp_eq_u32 s2, 2
	s_cselect_b32 s0, -1, 0
	s_cmp_eq_u32 s2, 1
	s_cselect_b32 s1, -1, 0
	s_cmp_eq_u32 s2, 0
	s_cselect_b32 s2, -1, 0
	s_and_b32 s3, s8, 3
	s_wait_alu 0xfffe
	s_cmp_eq_u32 s3, 1
	s_wait_loadcnt 0x0
	v_cndmask_b32_e64 v5, v5, v13, s1
	v_cndmask_b32_e64 v4, v4, v13, s2
	;; [unrolled: 1-line block ×3, first 2 shown]
	v_cndmask_b32_e32 v7, v7, v13, vcc_lo
	s_cselect_b32 vcc_lo, -1, 0
	s_cmp_eq_u32 s3, 2
	s_wait_alu 0xfffe
	v_cndmask_b32_e32 v14, v4, v5, vcc_lo
	s_cselect_b32 vcc_lo, -1, 0
	s_cmp_eq_u32 s3, 3
	s_wait_alu 0xfffe
	s_delay_alu instid0(VALU_DEP_1)
	v_cndmask_b32_e32 v14, v14, v6, vcc_lo
	s_cselect_b32 vcc_lo, -1, 0
	s_add_co_i32 s0, s10, 2
	s_mov_b64 s[10:11], s[8:9]
	s_wait_alu 0xfffe
	s_and_b32 s0, s0, 3
	v_cndmask_b32_e32 v14, v14, v7, vcc_lo
	s_wait_alu 0xfffe
	s_cmp_eq_u32 s0, 1
	s_cselect_b32 vcc_lo, -1, 0
	s_cmp_eq_u32 s0, 2
	s_wait_alu 0xfffe
	v_cndmask_b32_e32 v15, v4, v5, vcc_lo
	s_cselect_b32 vcc_lo, -1, 0
	s_cmp_eq_u32 s0, 3
	v_fma_f32 v14, v0, v14, 0
	s_wait_alu 0xfffe
	v_cndmask_b32_e32 v15, v15, v6, vcc_lo
	s_cselect_b32 vcc_lo, -1, 0
	s_xor_b32 s1, s3, 2
	s_wait_alu 0xfffe
	s_cmp_eq_u32 s1, 1
	s_cselect_b32 s0, -1, 0
	s_cmp_eq_u32 s1, 2
	s_wait_alu 0xfffe
	v_cndmask_b32_e64 v16, v4, v5, s0
	v_cndmask_b32_e32 v15, v15, v7, vcc_lo
	s_cselect_b32 vcc_lo, -1, 0
	s_cmp_eq_u32 s1, 3
	s_wait_alu 0xfffe
	v_cndmask_b32_e32 v16, v16, v6, vcc_lo
	s_cselect_b32 vcc_lo, -1, 0
	v_fmac_f32_e32 v14, v1, v15
	s_cmp_eq_u64 s[6:7], s[8:9]
	s_wait_alu 0xfffe
	v_cndmask_b32_e32 v15, v16, v7, vcc_lo
	s_delay_alu instid0(VALU_DEP_1) | instskip(NEXT) | instid1(VALU_DEP_1)
	v_fmac_f32_e32 v14, v2, v15
	v_fmac_f32_e32 v14, v3, v13
	s_delay_alu instid0(VALU_DEP_1) | instskip(NEXT) | instid1(VALU_DEP_1)
	v_add_f32_e32 v13, v12, v14
	v_mul_f32_e32 v14, 0xbfb8aa3b, v13
	s_delay_alu instid0(VALU_DEP_1) | instskip(SKIP_1) | instid1(VALU_DEP_1)
	v_fma_f32 v15, 0xbfb8aa3b, v13, -v14
	v_rndne_f32_e32 v16, v14
	v_dual_sub_f32 v14, v14, v16 :: v_dual_fmac_f32 v15, 0xb2a5705f, v13
	v_cmp_nlt_f32_e32 vcc_lo, 0x42ce8ed0, v13
	s_delay_alu instid0(VALU_DEP_2) | instskip(SKIP_1) | instid1(VALU_DEP_2)
	v_add_f32_e32 v14, v14, v15
	v_cvt_i32_f32_e32 v15, v16
	v_exp_f32_e32 v14, v14
	s_delay_alu instid0(TRANS32_DEP_1) | instskip(SKIP_1) | instid1(VALU_DEP_1)
	v_ldexp_f32 v14, v14, v15
	s_wait_alu 0xfffd
	v_cndmask_b32_e32 v14, 0, v14, vcc_lo
	v_cmp_ngt_f32_e32 vcc_lo, 0xc2b17218, v13
	s_wait_alu 0xfffd
	s_delay_alu instid0(VALU_DEP_2) | instskip(SKIP_3) | instid1(VALU_DEP_3)
	v_cndmask_b32_e32 v14, 0x7f800000, v14, vcc_lo
	v_add_co_u32 v8, vcc_lo, v8, 4
	s_wait_alu 0xfffd
	v_add_co_ci_u32_e64 v9, null, 0, v9, vcc_lo
	v_add_f32_e32 v14, 1.0, v14
	s_delay_alu instid0(VALU_DEP_1) | instskip(SKIP_1) | instid1(VALU_DEP_2)
	v_div_scale_f32 v15, null, v14, v14, v13
	v_div_scale_f32 v17, vcc_lo, v13, v14, v13
	v_rcp_f32_e32 v16, v15
	s_delay_alu instid0(TRANS32_DEP_1) | instskip(NEXT) | instid1(VALU_DEP_1)
	v_fma_f32 v18, -v15, v16, 1.0
	v_fmac_f32_e32 v16, v18, v16
	s_delay_alu instid0(VALU_DEP_1) | instskip(NEXT) | instid1(VALU_DEP_1)
	v_mul_f32_e32 v18, v17, v16
	v_fma_f32 v19, -v15, v18, v17
	s_delay_alu instid0(VALU_DEP_1) | instskip(NEXT) | instid1(VALU_DEP_1)
	v_fmac_f32_e32 v18, v19, v16
	v_fma_f32 v15, -v15, v18, v17
	s_wait_alu 0xfffd
	s_delay_alu instid0(VALU_DEP_1) | instskip(NEXT) | instid1(VALU_DEP_1)
	v_div_fmas_f32 v15, v15, v16, v18
	v_div_fixup_f32 v13, v15, v14, v13
	global_store_b32 v[10:11], v13, off
	v_add_co_u32 v10, vcc_lo, v10, s4
	s_wait_alu 0xfffd
	v_add_co_ci_u32_e64 v11, null, s5, v11, vcc_lo
	s_cbranch_scc0 .LBB2_5
.LBB2_6:
	s_endpgm
	.section	.rodata,"a",@progbits
	.p2align	6, 0x0
	.amdhsa_kernel _ZL12ssm_conv_f32ILb1ELm128ELm4EEvPKfS1_S1_iiiiPfiiil
		.amdhsa_group_segment_fixed_size 0
		.amdhsa_private_segment_fixed_size 0
		.amdhsa_kernarg_size 72
		.amdhsa_user_sgpr_count 2
		.amdhsa_user_sgpr_dispatch_ptr 0
		.amdhsa_user_sgpr_queue_ptr 0
		.amdhsa_user_sgpr_kernarg_segment_ptr 1
		.amdhsa_user_sgpr_dispatch_id 0
		.amdhsa_user_sgpr_private_segment_size 0
		.amdhsa_wavefront_size32 1
		.amdhsa_uses_dynamic_stack 0
		.amdhsa_enable_private_segment 0
		.amdhsa_system_sgpr_workgroup_id_x 1
		.amdhsa_system_sgpr_workgroup_id_y 1
		.amdhsa_system_sgpr_workgroup_id_z 0
		.amdhsa_system_sgpr_workgroup_info 0
		.amdhsa_system_vgpr_workitem_id 0
		.amdhsa_next_free_vgpr 20
		.amdhsa_next_free_sgpr 16
		.amdhsa_reserve_vcc 1
		.amdhsa_float_round_mode_32 0
		.amdhsa_float_round_mode_16_64 0
		.amdhsa_float_denorm_mode_32 3
		.amdhsa_float_denorm_mode_16_64 3
		.amdhsa_fp16_overflow 0
		.amdhsa_workgroup_processor_mode 1
		.amdhsa_memory_ordered 1
		.amdhsa_forward_progress 1
		.amdhsa_inst_pref_size 11
		.amdhsa_round_robin_scheduling 0
		.amdhsa_exception_fp_ieee_invalid_op 0
		.amdhsa_exception_fp_denorm_src 0
		.amdhsa_exception_fp_ieee_div_zero 0
		.amdhsa_exception_fp_ieee_overflow 0
		.amdhsa_exception_fp_ieee_underflow 0
		.amdhsa_exception_fp_ieee_inexact 0
		.amdhsa_exception_int_div_zero 0
	.end_amdhsa_kernel
	.section	.text._ZL12ssm_conv_f32ILb1ELm128ELm4EEvPKfS1_S1_iiiiPfiiil,"axG",@progbits,_ZL12ssm_conv_f32ILb1ELm128ELm4EEvPKfS1_S1_iiiiPfiiil,comdat
.Lfunc_end2:
	.size	_ZL12ssm_conv_f32ILb1ELm128ELm4EEvPKfS1_S1_iiiiPfiiil, .Lfunc_end2-_ZL12ssm_conv_f32ILb1ELm128ELm4EEvPKfS1_S1_iiiiPfiiil
                                        ; -- End function
	.set _ZL12ssm_conv_f32ILb1ELm128ELm4EEvPKfS1_S1_iiiiPfiiil.num_vgpr, 20
	.set _ZL12ssm_conv_f32ILb1ELm128ELm4EEvPKfS1_S1_iiiiPfiiil.num_agpr, 0
	.set _ZL12ssm_conv_f32ILb1ELm128ELm4EEvPKfS1_S1_iiiiPfiiil.numbered_sgpr, 16
	.set _ZL12ssm_conv_f32ILb1ELm128ELm4EEvPKfS1_S1_iiiiPfiiil.num_named_barrier, 0
	.set _ZL12ssm_conv_f32ILb1ELm128ELm4EEvPKfS1_S1_iiiiPfiiil.private_seg_size, 0
	.set _ZL12ssm_conv_f32ILb1ELm128ELm4EEvPKfS1_S1_iiiiPfiiil.uses_vcc, 1
	.set _ZL12ssm_conv_f32ILb1ELm128ELm4EEvPKfS1_S1_iiiiPfiiil.uses_flat_scratch, 0
	.set _ZL12ssm_conv_f32ILb1ELm128ELm4EEvPKfS1_S1_iiiiPfiiil.has_dyn_sized_stack, 0
	.set _ZL12ssm_conv_f32ILb1ELm128ELm4EEvPKfS1_S1_iiiiPfiiil.has_recursion, 0
	.set _ZL12ssm_conv_f32ILb1ELm128ELm4EEvPKfS1_S1_iiiiPfiiil.has_indirect_call, 0
	.section	.AMDGPU.csdata,"",@progbits
; Kernel info:
; codeLenInByte = 1296
; TotalNumSgprs: 18
; NumVgprs: 20
; ScratchSize: 0
; MemoryBound: 0
; FloatMode: 240
; IeeeMode: 1
; LDSByteSize: 0 bytes/workgroup (compile time only)
; SGPRBlocks: 0
; VGPRBlocks: 2
; NumSGPRsForWavesPerEU: 18
; NumVGPRsForWavesPerEU: 20
; Occupancy: 16
; WaveLimiterHint : 0
; COMPUTE_PGM_RSRC2:SCRATCH_EN: 0
; COMPUTE_PGM_RSRC2:USER_SGPR: 2
; COMPUTE_PGM_RSRC2:TRAP_HANDLER: 0
; COMPUTE_PGM_RSRC2:TGID_X_EN: 1
; COMPUTE_PGM_RSRC2:TGID_Y_EN: 1
; COMPUTE_PGM_RSRC2:TGID_Z_EN: 0
; COMPUTE_PGM_RSRC2:TIDIG_COMP_CNT: 0
	.section	.text._ZL23ssm_conv_long_token_f32ILb1ELm128ELm4ELl32EEvPKfS1_S1_iiiiPfiiil,"axG",@progbits,_ZL23ssm_conv_long_token_f32ILb1ELm128ELm4ELl32EEvPKfS1_S1_iiiiPfiiil,comdat
	.globl	_ZL23ssm_conv_long_token_f32ILb1ELm128ELm4ELl32EEvPKfS1_S1_iiiiPfiiil ; -- Begin function _ZL23ssm_conv_long_token_f32ILb1ELm128ELm4ELl32EEvPKfS1_S1_iiiiPfiiil
	.p2align	8
	.type	_ZL23ssm_conv_long_token_f32ILb1ELm128ELm4ELl32EEvPKfS1_S1_iiiiPfiiil,@function
_ZL23ssm_conv_long_token_f32ILb1ELm128ELm4ELl32EEvPKfS1_S1_iiiiPfiiil: ; @_ZL23ssm_conv_long_token_f32ILb1ELm128ELm4ELl32EEvPKfS1_S1_iiiiPfiiil
; %bb.0:
	v_mul_u32_u24_e32 v1, 0x751, v0
	s_clause 0x1
	s_load_b128 s[4:7], s[0:1], 0x18
	s_load_b64 s[8:9], s[0:1], 0x0
	s_lshr_b32 s10, ttmp7, 11
	s_and_b32 s2, ttmp7, 0xffff
	v_lshrrev_b32_e32 v13, 16, v1
	s_and_b32 s12, s10, 0x1fffe0
	s_mov_b32 s3, 0
	s_lshl_b32 s2, s2, 7
	s_mov_b32 s13, s3
	v_mul_lo_u16 v1, v13, 35
	s_delay_alu instid0(VALU_DEP_1) | instskip(NEXT) | instid1(VALU_DEP_1)
	v_sub_nc_u16 v14, v0, v1
	v_or_b32_e32 v1, 0x80, v14
	s_wait_kmcnt 0x0
	s_mul_i32 s10, s6, ttmp9
	s_ashr_i32 s6, s5, 2
	v_and_b32_e32 v14, 0xffff, v14
	s_ashr_i32 s15, s5, 31
	v_mul_lo_u16 v2, 0xeb, v1
	s_mov_b32 s14, s5
	s_ashr_i32 s11, s10, 31
	s_ashr_i32 s17, s4, 31
	s_mov_b32 s16, s4
	v_lshrrev_b16 v15, 13, v2
	s_mul_u64 s[4:5], s[2:3], s[14:15]
	s_add_nc_u64 s[8:9], s[8:9], s[10:11]
	s_mul_u64 s[10:11], s[12:13], s[16:17]
	s_add_nc_u64 s[4:5], s[8:9], s[4:5]
	v_mul_lo_u16 v2, v15, 35
	v_and_b32_e32 v18, 0xffff, v15
	s_add_nc_u64 s[4:5], s[4:5], s[10:11]
	s_mov_b32 s8, exec_lo
	s_delay_alu instid0(VALU_DEP_2) | instskip(NEXT) | instid1(VALU_DEP_2)
	v_sub_nc_u16 v1, v1, v2
	v_add_nc_u32_e32 v43, v13, v18
	s_delay_alu instid0(VALU_DEP_2) | instskip(NEXT) | instid1(VALU_DEP_1)
	v_and_b32_e32 v1, 0xff, v1
	v_or_b32_e32 v2, 0x80, v1
	s_delay_alu instid0(VALU_DEP_1) | instskip(NEXT) | instid1(VALU_DEP_1)
	v_mul_lo_u16 v3, 0xeb, v2
	v_lshrrev_b16 v19, 13, v3
	s_delay_alu instid0(VALU_DEP_1) | instskip(NEXT) | instid1(VALU_DEP_1)
	v_mul_lo_u16 v3, v19, 35
	v_sub_nc_u16 v2, v2, v3
	s_delay_alu instid0(VALU_DEP_1) | instskip(NEXT) | instid1(VALU_DEP_1)
	v_and_b32_e32 v2, 0xff, v2
	v_or_b32_e32 v3, 0x80, v2
	s_delay_alu instid0(VALU_DEP_1) | instskip(NEXT) | instid1(VALU_DEP_1)
	v_mul_lo_u16 v4, 0xeb, v3
	v_lshrrev_b16 v22, 13, v4
	s_delay_alu instid0(VALU_DEP_1) | instskip(NEXT) | instid1(VALU_DEP_1)
	v_mul_lo_u16 v4, v22, 35
	v_sub_nc_u16 v3, v3, v4
	s_delay_alu instid0(VALU_DEP_1) | instskip(NEXT) | instid1(VALU_DEP_1)
	;; [unrolled: 9-line block ×6, first 2 shown]
	v_and_b32_e32 v7, 0xff, v7
	v_or_b32_e32 v8, 0x80, v7
	s_delay_alu instid0(VALU_DEP_1) | instskip(NEXT) | instid1(VALU_DEP_1)
	v_mul_lo_u16 v9, 0xeb, v8
	v_lshrrev_b16 v33, 13, v9
	s_delay_alu instid0(VALU_DEP_1) | instskip(SKIP_1) | instid1(VALU_DEP_2)
	v_mul_lo_u16 v9, v33, 35
	v_and_b32_e32 v36, 0xffff, v33
	v_sub_nc_u16 v8, v8, v9
	s_delay_alu instid0(VALU_DEP_1) | instskip(NEXT) | instid1(VALU_DEP_1)
	v_and_b32_e32 v8, 0xff, v8
	v_or_b32_e32 v9, 0x80, v8
	s_delay_alu instid0(VALU_DEP_1) | instskip(NEXT) | instid1(VALU_DEP_1)
	v_mul_lo_u16 v10, 0xeb, v9
	v_lshrrev_b16 v34, 13, v10
	s_delay_alu instid0(VALU_DEP_1) | instskip(SKIP_1) | instid1(VALU_DEP_2)
	v_mul_lo_u16 v10, v34, 35
	v_and_b32_e32 v34, 0xffff, v34
	v_sub_nc_u16 v9, v9, v10
	s_delay_alu instid0(VALU_DEP_1) | instskip(NEXT) | instid1(VALU_DEP_1)
	v_and_b32_e32 v9, 0xff, v9
	v_or_b32_e32 v10, 0x80, v9
	s_delay_alu instid0(VALU_DEP_1) | instskip(NEXT) | instid1(VALU_DEP_1)
	v_mul_lo_u16 v11, 0xeb, v10
	v_lshrrev_b16 v38, 13, v11
	s_delay_alu instid0(VALU_DEP_1) | instskip(NEXT) | instid1(VALU_DEP_1)
	v_mul_lo_u16 v11, v38, 35
	v_sub_nc_u16 v10, v10, v11
	s_delay_alu instid0(VALU_DEP_1) | instskip(NEXT) | instid1(VALU_DEP_1)
	v_and_b32_e32 v10, 0xff, v10
	v_or_b32_e32 v11, 0x80, v10
	s_delay_alu instid0(VALU_DEP_1) | instskip(NEXT) | instid1(VALU_DEP_1)
	v_mul_lo_u16 v12, 0xeb, v11
	v_lshrrev_b16 v40, 13, v12
	s_delay_alu instid0(VALU_DEP_1) | instskip(NEXT) | instid1(VALU_DEP_1)
	v_mul_lo_u16 v12, v40, 35
	;; [unrolled: 9-line block ×3, first 2 shown]
	v_sub_nc_u16 v12, v12, v16
	s_delay_alu instid0(VALU_DEP_1) | instskip(NEXT) | instid1(VALU_DEP_1)
	v_and_b32_e32 v12, 0xff, v12
	v_or_b32_e32 v17, 0x80, v12
	s_delay_alu instid0(VALU_DEP_1) | instskip(NEXT) | instid1(VALU_DEP_1)
	v_mul_lo_u16 v16, 0xeb, v17
	v_lshrrev_b16 v42, 13, v16
	v_mad_co_u64_u32 v[15:16], null, s6, v13, v[14:15]
	v_lshlrev_b32_e32 v14, 2, v14
	s_delay_alu instid0(VALU_DEP_3) | instskip(NEXT) | instid1(VALU_DEP_3)
	v_mul_lo_u16 v20, v42, 35
	v_ashrrev_i32_e32 v16, 31, v15
	s_delay_alu instid0(VALU_DEP_2) | instskip(SKIP_2) | instid1(VALU_DEP_4)
	v_sub_nc_u16 v20, v17, v20
	v_mad_co_u64_u32 v[17:18], null, v43, s6, v[1:2]
	v_and_b32_e32 v18, 0xffff, v19
	v_lshlrev_b64_e32 v[15:16], 2, v[15:16]
	s_delay_alu instid0(VALU_DEP_4) | instskip(SKIP_1) | instid1(VALU_DEP_4)
	v_and_b32_e32 v19, 0xff, v20
	v_lshlrev_b32_e32 v1, 2, v1
	v_add_nc_u32_e32 v44, v43, v18
	v_ashrrev_i32_e32 v18, 31, v17
	s_delay_alu instid0(VALU_DEP_4) | instskip(SKIP_1) | instid1(VALU_DEP_4)
	v_or_b32_e32 v25, 0x80, v19
	v_add_co_u32 v15, vcc_lo, s4, v15
	v_mad_co_u64_u32 v[20:21], null, v44, s6, v[2:3]
	v_and_b32_e32 v21, 0xffff, v22
	s_delay_alu instid0(VALU_DEP_4) | instskip(SKIP_2) | instid1(VALU_DEP_4)
	v_mul_lo_u16 v22, 0xeb, v25
	v_lshlrev_b64_e32 v[17:18], 2, v[17:18]
	v_add_co_ci_u32_e64 v16, null, s5, v16, vcc_lo
	v_add_nc_u32_e32 v45, v44, v21
	s_delay_alu instid0(VALU_DEP_4) | instskip(SKIP_2) | instid1(VALU_DEP_4)
	v_lshrrev_b16 v46, 13, v22
	v_ashrrev_i32_e32 v21, 31, v20
	v_add_co_u32 v17, vcc_lo, s4, v17
	v_mad_co_u64_u32 v[22:23], null, v45, s6, v[3:4]
	v_and_b32_e32 v23, 0xffff, v24
	v_mul_lo_u16 v24, v46, 35
	v_lshlrev_b64_e32 v[20:21], 2, v[20:21]
	s_wait_alu 0xfffd
	v_add_co_ci_u32_e64 v18, null, s5, v18, vcc_lo
	v_add_nc_u32_e32 v47, v45, v23
	v_sub_nc_u16 v27, v25, v24
	v_ashrrev_i32_e32 v23, 31, v22
	v_add_co_u32 v20, vcc_lo, s4, v20
	s_delay_alu instid0(VALU_DEP_4)
	v_mad_co_u64_u32 v[24:25], null, v47, s6, v[4:5]
	v_and_b32_e32 v25, 0xffff, v26
	v_and_b32_e32 v26, 0xff, v27
	v_lshlrev_b64_e32 v[22:23], 2, v[22:23]
	s_wait_alu 0xfffd
	v_add_co_ci_u32_e64 v21, null, s5, v21, vcc_lo
	v_add_nc_u32_e32 v48, v47, v25
	v_or_b32_e32 v32, 0x80, v26
	v_ashrrev_i32_e32 v25, 31, v24
	v_add_co_u32 v22, vcc_lo, s4, v22
	s_delay_alu instid0(VALU_DEP_4)
	v_mad_co_u64_u32 v[27:28], null, v48, s6, v[5:6]
	v_and_b32_e32 v28, 0xffff, v29
	v_mul_lo_u16 v29, 0xeb, v32
	v_lshlrev_b64_e32 v[24:25], 2, v[24:25]
	s_wait_alu 0xfffd
	v_add_co_ci_u32_e64 v23, null, s5, v23, vcc_lo
	v_add_nc_u32_e32 v49, v48, v28
	v_lshrrev_b16 v50, 13, v29
	v_ashrrev_i32_e32 v28, 31, v27
	v_add_co_u32 v24, vcc_lo, s4, v24
	s_delay_alu instid0(VALU_DEP_4)
	v_mad_co_u64_u32 v[29:30], null, v49, s6, v[6:7]
	v_and_b32_e32 v30, 0xffff, v31
	v_mul_lo_u16 v31, v50, 35
	v_lshlrev_b64_e32 v[27:28], 2, v[27:28]
	s_wait_alu 0xfffd
	v_add_co_ci_u32_e64 v25, null, s5, v25, vcc_lo
	v_add_nc_u32_e32 v51, v49, v30
	v_sub_nc_u16 v35, v32, v31
	v_ashrrev_i32_e32 v30, 31, v29
	v_add_co_u32 v27, vcc_lo, s4, v27
	s_delay_alu instid0(VALU_DEP_4) | instskip(NEXT) | instid1(VALU_DEP_4)
	v_add_nc_u32_e32 v52, v51, v36
	v_and_b32_e32 v33, 0xff, v35
	v_mad_co_u64_u32 v[31:32], null, v51, s6, v[7:8]
	v_lshlrev_b64_e32 v[29:30], 2, v[29:30]
	s_delay_alu instid0(VALU_DEP_4) | instskip(NEXT) | instid1(VALU_DEP_4)
	v_add_nc_u32_e32 v53, v52, v34
	v_or_b32_e32 v39, 0x80, v33
	s_wait_alu 0xfffd
	v_add_co_ci_u32_e64 v28, null, s5, v28, vcc_lo
	v_lshlrev_b32_e32 v2, 2, v2
	v_mad_co_u64_u32 v[36:37], null, v53, s6, v[9:10]
	v_mul_lo_u16 v35, 0xeb, v39
	v_ashrrev_i32_e32 v32, 31, v31
	v_add_co_u32 v29, vcc_lo, s4, v29
	s_wait_alu 0xfffd
	v_add_co_ci_u32_e64 v30, null, s5, v30, vcc_lo
	v_lshrrev_b16 v54, 13, v35
	v_mad_co_u64_u32 v[34:35], null, v52, s6, v[8:9]
	v_and_b32_e32 v35, 0xffff, v38
	v_lshlrev_b64_e32 v[31:32], 2, v[31:32]
	s_delay_alu instid0(VALU_DEP_4)
	v_mul_lo_u16 v37, v54, 35
	v_lshlrev_b32_e32 v4, 2, v4
	v_lshlrev_b32_e32 v5, 2, v5
	v_add_nc_u32_e32 v55, v53, v35
	v_ashrrev_i32_e32 v35, 31, v34
	v_sub_nc_u16 v56, v39, v37
	v_add_co_u32 v31, vcc_lo, s4, v31
	s_delay_alu instid0(VALU_DEP_4) | instskip(SKIP_1) | instid1(VALU_DEP_4)
	v_mad_co_u64_u32 v[38:39], null, v55, s6, v[10:11]
	v_and_b32_e32 v39, 0xffff, v40
	v_and_b32_e32 v40, 0xff, v56
	s_wait_alu 0xfffd
	v_add_co_ci_u32_e64 v32, null, s5, v32, vcc_lo
	s_clause 0x7
	global_load_b32 v56, v[15:16], off
	global_load_b32 v57, v[17:18], off
	global_load_b32 v58, v[20:21], off
	global_load_b32 v59, v[22:23], off
	global_load_b32 v60, v[24:25], off
	global_load_b32 v61, v[27:28], off
	global_load_b32 v62, v[29:30], off
	global_load_b32 v32, v[31:32], off
	v_add_nc_u32_e32 v63, v55, v39
	v_or_b32_e32 v24, 0x80, v40
	v_ashrrev_i32_e32 v37, 31, v36
	v_ashrrev_i32_e32 v39, 31, v38
	v_lshlrev_b64_e32 v[15:16], 2, v[34:35]
	v_mad_co_u64_u32 v[20:21], null, v63, s6, v[11:12]
	v_mul_lo_u16 v21, 0xeb, v24
	v_lshlrev_b64_e32 v[17:18], 2, v[36:37]
	v_lshlrev_b64_e32 v[22:23], 2, v[38:39]
	v_add_co_u32 v15, vcc_lo, s4, v15
	s_delay_alu instid0(VALU_DEP_4) | instskip(SKIP_4) | instid1(VALU_DEP_3)
	v_lshrrev_b16 v30, 13, v21
	v_ashrrev_i32_e32 v21, 31, v20
	s_wait_alu 0xfffd
	v_add_co_ci_u32_e64 v16, null, s5, v16, vcc_lo
	v_add_co_u32 v17, vcc_lo, s4, v17
	v_lshlrev_b64_e32 v[20:21], 2, v[20:21]
	s_wait_alu 0xfffd
	v_add_co_ci_u32_e64 v18, null, s5, v18, vcc_lo
	v_add_co_u32 v22, vcc_lo, s4, v22
	s_wait_alu 0xfffd
	v_add_co_ci_u32_e64 v23, null, s5, v23, vcc_lo
	v_add_co_u32 v20, vcc_lo, s4, v20
	s_wait_alu 0xfffd
	v_add_co_ci_u32_e64 v21, null, s5, v21, vcc_lo
	v_and_b32_e32 v25, 0xffff, v41
	v_and_b32_e32 v28, 0xffff, v42
	s_clause 0x3
	global_load_b32 v38, v[15:16], off
	global_load_b32 v39, v[17:18], off
	;; [unrolled: 1-line block ×4, first 2 shown]
	v_mul_lo_u16 v27, v30, 35
	v_lshlrev_b32_e32 v6, 2, v6
	v_add_nc_u32_e32 v36, v63, v25
	s_delay_alu instid0(VALU_DEP_3) | instskip(NEXT) | instid1(VALU_DEP_2)
	v_sub_nc_u16 v27, v24, v27
	v_mad_co_u64_u32 v[24:25], null, v36, s6, v[12:13]
	v_add_nc_u32_e32 v37, v36, v28
	s_delay_alu instid0(VALU_DEP_3) | instskip(SKIP_1) | instid1(VALU_DEP_3)
	v_and_b32_e32 v27, 0xff, v27
	v_mul_u32_u24_e32 v13, 0x8c, v13
	v_mad_co_u64_u32 v[28:29], null, v37, s6, v[19:20]
	s_delay_alu instid0(VALU_DEP_3)
	v_or_b32_e32 v31, 0x80, v27
	v_ashrrev_i32_e32 v25, 31, v24
	v_and_b32_e32 v29, 0xffff, v46
	v_add3_u32 v13, 0, v13, v14
	v_mul_u32_u24_e32 v14, 0x8c, v48
	v_mul_lo_u16 v34, 0xeb, v31
	v_lshlrev_b64_e32 v[15:16], 2, v[24:25]
	v_add_nc_u32_e32 v46, v37, v29
	v_ashrrev_i32_e32 v29, 31, v28
	s_delay_alu instid0(VALU_DEP_4) | instskip(NEXT) | instid1(VALU_DEP_3)
	v_lshrrev_b16 v25, 13, v34
	v_mad_co_u64_u32 v[17:18], null, v46, s6, v[26:27]
	v_and_b32_e32 v18, 0xffff, v50
	s_delay_alu instid0(VALU_DEP_3)
	v_mul_lo_u16 v22, v25, 35
	v_lshlrev_b64_e32 v[20:21], 2, v[28:29]
	v_and_b32_e32 v28, 0xffff, v54
	v_and_b32_e32 v25, 0xffff, v25
	v_add_nc_u32_e32 v50, v46, v18
	v_sub_nc_u16 v24, v31, v22
	v_ashrrev_i32_e32 v18, 31, v17
	v_add_co_u32 v15, vcc_lo, s4, v15
	s_delay_alu instid0(VALU_DEP_4) | instskip(NEXT) | instid1(VALU_DEP_4)
	v_mad_co_u64_u32 v[22:23], null, v50, s6, v[33:34]
	v_and_b32_e32 v24, 0xff, v24
	v_add_nc_u32_e32 v54, v50, v28
	v_and_b32_e32 v28, 0xffff, v30
	v_lshlrev_b64_e32 v[17:18], 2, v[17:18]
	s_wait_alu 0xfffd
	v_add_co_ci_u32_e64 v16, null, s5, v16, vcc_lo
	v_or_b32_e32 v34, 0x80, v24
	v_add_nc_u32_e32 v64, v54, v28
	v_ashrrev_i32_e32 v23, 31, v22
	v_add_co_u32 v20, vcc_lo, s4, v20
	s_delay_alu instid0(VALU_DEP_4)
	v_mul_lo_u16 v29, 0xeb, v34
	s_wait_alu 0xfffd
	v_add_co_ci_u32_e64 v21, null, s5, v21, vcc_lo
	v_lshlrev_b64_e32 v[22:23], 2, v[22:23]
	v_add_co_u32 v17, vcc_lo, s4, v17
	v_lshrrev_b16 v35, 13, v29
	v_add_nc_u32_e32 v65, v64, v25
	s_wait_alu 0xfffd
	v_add_co_ci_u32_e64 v18, null, s5, v18, vcc_lo
	v_add_co_u32 v22, vcc_lo, s4, v22
	v_and_b32_e32 v25, 0xffff, v35
	s_wait_alu 0xfffd
	v_add_co_ci_u32_e64 v23, null, s5, v23, vcc_lo
	s_delay_alu instid0(VALU_DEP_2) | instskip(SKIP_2) | instid1(VALU_DEP_1)
	v_add_nc_u32_e32 v67, v65, v25
	s_wait_loadcnt 0x1
	v_mad_co_u64_u32 v[28:29], null, v54, s6, v[40:41]
	v_mad_co_u64_u32 v[30:31], null, v64, s6, v[27:28]
	v_mul_lo_u16 v31, v35, 35
	v_ashrrev_i32_e32 v29, 31, v28
	s_delay_alu instid0(VALU_DEP_2) | instskip(SKIP_2) | instid1(VALU_DEP_3)
	v_sub_nc_u16 v66, v34, v31
	v_mad_co_u64_u32 v[34:35], null, v65, s6, v[24:25]
	v_ashrrev_i32_e32 v31, 31, v30
	v_and_b32_e32 v25, 0xff, v66
	s_clause 0x3
	global_load_b32 v66, v[15:16], off
	global_load_b32 v68, v[20:21], off
	global_load_b32 v69, v[17:18], off
	global_load_b32 v70, v[22:23], off
	v_lshlrev_b64_e32 v[15:16], 2, v[28:29]
	v_lshlrev_b64_e32 v[20:21], 2, v[30:31]
	v_ashrrev_i32_e32 v35, 31, v34
	v_mad_co_u64_u32 v[17:18], null, v67, s6, v[25:26]
	s_delay_alu instid0(VALU_DEP_4) | instskip(NEXT) | instid1(VALU_DEP_3)
	v_add_co_u32 v15, vcc_lo, s4, v15
	v_lshlrev_b64_e32 v[22:23], 2, v[34:35]
	s_wait_alu 0xfffd
	v_add_co_ci_u32_e64 v16, null, s5, v16, vcc_lo
	s_delay_alu instid0(VALU_DEP_4) | instskip(SKIP_3) | instid1(VALU_DEP_3)
	v_ashrrev_i32_e32 v18, 31, v17
	v_add_co_u32 v20, vcc_lo, s4, v20
	s_wait_alu 0xfffd
	v_add_co_ci_u32_e64 v21, null, s5, v21, vcc_lo
	v_lshlrev_b64_e32 v[17:18], 2, v[17:18]
	v_add_co_u32 v22, vcc_lo, s4, v22
	s_wait_alu 0xfffd
	v_add_co_ci_u32_e64 v23, null, s5, v23, vcc_lo
	s_delay_alu instid0(VALU_DEP_3)
	v_add_co_u32 v17, vcc_lo, s4, v17
	s_wait_alu 0xfffd
	v_add_co_ci_u32_e64 v18, null, s5, v18, vcc_lo
	s_clause 0x3
	global_load_b32 v15, v[15:16], off
	global_load_b32 v16, v[20:21], off
	;; [unrolled: 1-line block ×4, first 2 shown]
	v_mul_u32_u24_e32 v18, 0x8c, v43
	v_mul_u32_u24_e32 v21, 0x8c, v44
	s_delay_alu instid0(VALU_DEP_2) | instskip(NEXT) | instid1(VALU_DEP_2)
	v_add3_u32 v1, 0, v18, v1
	v_add3_u32 v2, 0, v21, v2
	ds_store_b32 v13, v56
	ds_store_b32 v1, v57
	;; [unrolled: 1-line block ×3, first 2 shown]
	v_mul_u32_u24_e32 v1, 0x8c, v45
	v_lshlrev_b32_e32 v2, 2, v3
	v_mul_u32_u24_e32 v3, 0x8c, v47
	v_mul_lo_u32 v13, 0x8c, v49
	s_delay_alu instid0(VALU_DEP_3) | instskip(NEXT) | instid1(VALU_DEP_3)
	v_add3_u32 v1, 0, v1, v2
	v_add3_u32 v2, 0, v3, v4
	v_mul_lo_u32 v3, 0x8c, v51
	v_add3_u32 v4, 0, v14, v5
	v_add3_u32 v5, 0, v13, v6
	v_lshlrev_b32_e32 v6, 2, v7
	ds_store_b32 v1, v59
	ds_store_b32 v2, v60
	;; [unrolled: 1-line block ×4, first 2 shown]
	v_mul_lo_u32 v2, 0x8c, v52
	v_mul_lo_u32 v4, 0x8c, v53
	v_lshlrev_b32_e32 v5, 2, v9
	v_add3_u32 v1, 0, v3, v6
	v_lshlrev_b32_e32 v3, 2, v8
	v_mul_lo_u32 v6, 0x8c, v55
	v_mul_lo_u32 v7, 0x8c, v63
	v_lshlrev_b32_e32 v8, 2, v11
	ds_store_b32 v1, v32
	v_lshlrev_b32_e32 v1, 2, v10
	v_add3_u32 v2, 0, v2, v3
	v_add3_u32 v3, 0, v4, v5
	v_mul_lo_u32 v4, 0x8c, v36
	v_lshlrev_b32_e32 v9, 2, v24
	v_add3_u32 v1, 0, v6, v1
	v_lshlrev_b32_e32 v6, 2, v12
	v_add3_u32 v5, 0, v7, v8
	ds_store_b32 v2, v38
	ds_store_b32 v3, v39
	;; [unrolled: 1-line block ×3, first 2 shown]
	s_wait_loadcnt 0x8
	ds_store_b32 v5, v42
	v_mul_lo_u32 v2, 0x8c, v37
	v_add3_u32 v1, 0, v4, v6
	v_mul_lo_u32 v5, 0x8c, v50
	v_mul_lo_u32 v3, 0x8c, v46
	v_lshlrev_b32_e32 v4, 2, v19
	v_or_b32_e32 v7, 0x80, v25
	v_lshlrev_b32_e32 v6, 2, v26
	v_lshlrev_b32_e32 v8, 2, v27
	;; [unrolled: 1-line block ×3, first 2 shown]
	v_add3_u32 v2, 0, v2, v4
	v_mul_lo_u32 v4, 0x8c, v54
	v_add3_u32 v3, 0, v3, v6
	v_lshlrev_b32_e32 v6, 2, v40
	s_wait_loadcnt 0x7
	ds_store_b32 v1, v66
	v_lshlrev_b32_e32 v1, 2, v33
	s_delay_alu instid0(VALU_DEP_1)
	v_add3_u32 v1, 0, v5, v1
	v_mul_lo_u16 v5, 0xeb, v7
	s_wait_loadcnt 0x6
	ds_store_b32 v2, v68
	s_wait_loadcnt 0x5
	ds_store_b32 v3, v69
	;; [unrolled: 2-line block ×3, first 2 shown]
	v_add3_u32 v3, 0, v4, v6
	v_mul_lo_u32 v4, 0x8c, v64
	v_lshrrev_b16 v1, 13, v5
	v_mul_lo_u32 v5, 0x8c, v65
	v_mul_lo_u32 v6, 0x8c, v67
	s_delay_alu instid0(VALU_DEP_3) | instskip(SKIP_3) | instid1(VALU_DEP_4)
	v_mul_lo_u16 v2, v1, 35
	v_and_b32_e32 v1, 0xffff, v1
	v_add3_u32 v4, 0, v4, v8
	v_add3_u32 v5, 0, v5, v9
	v_sub_nc_u16 v7, v7, v2
	s_delay_alu instid0(VALU_DEP_4)
	v_add_nc_u32_e32 v2, v67, v1
	v_add3_u32 v6, 0, v6, v10
	s_wait_loadcnt 0x3
	ds_store_b32 v3, v15
	s_wait_loadcnt 0x2
	ds_store_b32 v4, v16
	;; [unrolled: 2-line block ×4, first 2 shown]
	v_and_b32_e32 v1, 0xff, v7
	v_cmpx_gt_u32_e32 0x80, v2
	s_cbranch_execz .LBB3_2
; %bb.1:
	s_delay_alu instid0(VALU_DEP_2) | instskip(SKIP_1) | instid1(VALU_DEP_2)
	v_mad_co_u64_u32 v[3:4], null, v2, s6, v[1:2]
	v_lshlrev_b32_e32 v5, 2, v1
	v_ashrrev_i32_e32 v4, 31, v3
	s_delay_alu instid0(VALU_DEP_1) | instskip(NEXT) | instid1(VALU_DEP_1)
	v_lshlrev_b64_e32 v[3:4], 2, v[3:4]
	v_add_co_u32 v3, vcc_lo, s4, v3
	s_wait_alu 0xfffd
	s_delay_alu instid0(VALU_DEP_2) | instskip(SKIP_2) | instid1(VALU_DEP_1)
	v_add_co_ci_u32_e64 v4, null, s5, v4, vcc_lo
	global_load_b32 v3, v[3:4], off
	v_mul_lo_u32 v4, 0x8c, v2
	v_add3_u32 v4, 0, v4, v5
	s_wait_loadcnt 0x0
	ds_store_b32 v4, v3
.LBB3_2:
	s_or_b32 exec_lo, exec_lo, s8
	s_delay_alu instid0(VALU_DEP_2) | instskip(SKIP_1) | instid1(VALU_DEP_1)
	v_or_b32_e32 v1, 0x80, v1
	s_mov_b32 s8, exec_lo
	v_mul_lo_u16 v3, 0xeb, v1
	s_delay_alu instid0(VALU_DEP_1) | instskip(NEXT) | instid1(VALU_DEP_1)
	v_lshrrev_b16 v3, 13, v3
	v_mul_lo_u16 v4, v3, 35
	v_and_b32_e32 v3, 0xffff, v3
	s_delay_alu instid0(VALU_DEP_2) | instskip(NEXT) | instid1(VALU_DEP_2)
	v_sub_nc_u16 v1, v1, v4
	v_add_nc_u32_e32 v2, v2, v3
	s_delay_alu instid0(VALU_DEP_2) | instskip(NEXT) | instid1(VALU_DEP_2)
	v_and_b32_e32 v1, 0xff, v1
	v_cmpx_gt_u32_e32 0x80, v2
	s_cbranch_execz .LBB3_4
; %bb.3:
	s_delay_alu instid0(VALU_DEP_2) | instskip(SKIP_1) | instid1(VALU_DEP_2)
	v_mad_co_u64_u32 v[3:4], null, v2, s6, v[1:2]
	v_lshlrev_b32_e32 v5, 2, v1
	v_ashrrev_i32_e32 v4, 31, v3
	s_delay_alu instid0(VALU_DEP_1) | instskip(NEXT) | instid1(VALU_DEP_1)
	v_lshlrev_b64_e32 v[3:4], 2, v[3:4]
	v_add_co_u32 v3, vcc_lo, s4, v3
	s_wait_alu 0xfffd
	s_delay_alu instid0(VALU_DEP_2) | instskip(SKIP_2) | instid1(VALU_DEP_1)
	v_add_co_ci_u32_e64 v4, null, s5, v4, vcc_lo
	global_load_b32 v3, v[3:4], off
	v_mul_lo_u32 v4, 0x8c, v2
	v_add3_u32 v4, 0, v4, v5
	s_wait_loadcnt 0x0
	ds_store_b32 v4, v3
.LBB3_4:
	s_or_b32 exec_lo, exec_lo, s8
	s_delay_alu instid0(VALU_DEP_2) | instskip(SKIP_1) | instid1(VALU_DEP_1)
	v_or_b32_e32 v1, 0x80, v1
	s_mov_b32 s8, exec_lo
	v_mul_lo_u16 v3, 0xeb, v1
	s_delay_alu instid0(VALU_DEP_1) | instskip(NEXT) | instid1(VALU_DEP_1)
	v_lshrrev_b16 v3, 13, v3
	v_mul_lo_u16 v4, v3, 35
	v_and_b32_e32 v3, 0xffff, v3
	s_delay_alu instid0(VALU_DEP_2) | instskip(NEXT) | instid1(VALU_DEP_2)
	v_sub_nc_u16 v1, v1, v4
	v_add_nc_u32_e32 v2, v2, v3
	s_delay_alu instid0(VALU_DEP_2) | instskip(NEXT) | instid1(VALU_DEP_2)
	;; [unrolled: 33-line block ×7, first 2 shown]
	v_and_b32_e32 v1, 0xff, v1
	v_cmpx_gt_u32_e32 0x80, v2
	s_cbranch_execz .LBB3_16
; %bb.15:
	s_delay_alu instid0(VALU_DEP_2) | instskip(SKIP_1) | instid1(VALU_DEP_2)
	v_mad_co_u64_u32 v[3:4], null, v2, s6, v[1:2]
	v_lshlrev_b32_e32 v5, 2, v1
	v_ashrrev_i32_e32 v4, 31, v3
	s_delay_alu instid0(VALU_DEP_1) | instskip(NEXT) | instid1(VALU_DEP_1)
	v_lshlrev_b64_e32 v[3:4], 2, v[3:4]
	v_add_co_u32 v3, vcc_lo, s4, v3
	s_wait_alu 0xfffd
	s_delay_alu instid0(VALU_DEP_2) | instskip(SKIP_2) | instid1(VALU_DEP_1)
	v_add_co_ci_u32_e64 v4, null, s5, v4, vcc_lo
	global_load_b32 v3, v[3:4], off
	v_mul_lo_u32 v4, 0x8c, v2
	v_add3_u32 v4, 0, v4, v5
	s_wait_loadcnt 0x0
	ds_store_b32 v4, v3
.LBB3_16:
	s_or_b32 exec_lo, exec_lo, s8
	s_delay_alu instid0(SALU_CYCLE_1)
	s_mov_b32 s8, exec_lo
	v_cmpx_gt_u32_e32 0x380, v0
	s_cbranch_execz .LBB3_37
; %bb.17:
	v_or_b32_e32 v1, 0x80, v1
	s_mov_b32 s9, exec_lo
	s_delay_alu instid0(VALU_DEP_1) | instskip(NEXT) | instid1(VALU_DEP_1)
	v_mul_lo_u16 v3, 0xeb, v1
	v_lshrrev_b16 v3, 13, v3
	s_delay_alu instid0(VALU_DEP_1) | instskip(SKIP_1) | instid1(VALU_DEP_2)
	v_mul_lo_u16 v4, v3, 35
	v_and_b32_e32 v3, 0xffff, v3
	v_sub_nc_u16 v1, v1, v4
	s_delay_alu instid0(VALU_DEP_2) | instskip(NEXT) | instid1(VALU_DEP_2)
	v_add_nc_u32_e32 v2, v2, v3
	v_and_b32_e32 v1, 0xff, v1
	s_delay_alu instid0(VALU_DEP_2)
	v_cmpx_gt_u32_e32 0x80, v2
	s_cbranch_execz .LBB3_19
; %bb.18:
	s_delay_alu instid0(VALU_DEP_2) | instskip(SKIP_1) | instid1(VALU_DEP_2)
	v_mad_co_u64_u32 v[3:4], null, v2, s6, v[1:2]
	v_lshlrev_b32_e32 v5, 2, v1
	v_ashrrev_i32_e32 v4, 31, v3
	s_delay_alu instid0(VALU_DEP_1) | instskip(NEXT) | instid1(VALU_DEP_1)
	v_lshlrev_b64_e32 v[3:4], 2, v[3:4]
	v_add_co_u32 v3, vcc_lo, s4, v3
	s_wait_alu 0xfffd
	s_delay_alu instid0(VALU_DEP_2) | instskip(SKIP_2) | instid1(VALU_DEP_1)
	v_add_co_ci_u32_e64 v4, null, s5, v4, vcc_lo
	global_load_b32 v3, v[3:4], off
	v_mul_lo_u32 v4, 0x8c, v2
	v_add3_u32 v4, 0, v4, v5
	s_wait_loadcnt 0x0
	ds_store_b32 v4, v3
.LBB3_19:
	s_or_b32 exec_lo, exec_lo, s9
	v_cmp_gt_u32_e32 vcc_lo, 0x300, v0
	s_and_b32 exec_lo, exec_lo, vcc_lo
	s_cbranch_execz .LBB3_37
; %bb.20:
	v_or_b32_e32 v1, 0x80, v1
	s_mov_b32 s9, exec_lo
	s_delay_alu instid0(VALU_DEP_1) | instskip(NEXT) | instid1(VALU_DEP_1)
	v_mul_lo_u16 v3, 0xeb, v1
	v_lshrrev_b16 v3, 13, v3
	s_delay_alu instid0(VALU_DEP_1) | instskip(SKIP_1) | instid1(VALU_DEP_2)
	v_mul_lo_u16 v4, v3, 35
	v_and_b32_e32 v3, 0xffff, v3
	v_sub_nc_u16 v1, v1, v4
	s_delay_alu instid0(VALU_DEP_2) | instskip(NEXT) | instid1(VALU_DEP_2)
	v_add_nc_u32_e32 v2, v2, v3
	v_and_b32_e32 v1, 0xff, v1
	s_delay_alu instid0(VALU_DEP_2)
	v_cmpx_gt_u32_e32 0x80, v2
	s_cbranch_execz .LBB3_22
; %bb.21:
	s_delay_alu instid0(VALU_DEP_2) | instskip(SKIP_1) | instid1(VALU_DEP_2)
	v_mad_co_u64_u32 v[3:4], null, v2, s6, v[1:2]
	v_lshlrev_b32_e32 v5, 2, v1
	v_ashrrev_i32_e32 v4, 31, v3
	s_delay_alu instid0(VALU_DEP_1) | instskip(NEXT) | instid1(VALU_DEP_1)
	v_lshlrev_b64_e32 v[3:4], 2, v[3:4]
	v_add_co_u32 v3, vcc_lo, s4, v3
	s_wait_alu 0xfffd
	s_delay_alu instid0(VALU_DEP_2) | instskip(SKIP_2) | instid1(VALU_DEP_1)
	v_add_co_ci_u32_e64 v4, null, s5, v4, vcc_lo
	global_load_b32 v3, v[3:4], off
	v_mul_lo_u32 v4, 0x8c, v2
	v_add3_u32 v4, 0, v4, v5
	s_wait_loadcnt 0x0
	ds_store_b32 v4, v3
.LBB3_22:
	s_or_b32 exec_lo, exec_lo, s9
	v_cmp_gt_u32_e32 vcc_lo, 0x280, v0
	s_and_b32 exec_lo, exec_lo, vcc_lo
	;; [unrolled: 37-line block ×6, first 2 shown]
	s_cbranch_execz .LBB3_37
; %bb.35:
	v_or_b32_e32 v3, 0x80, v1
	s_delay_alu instid0(VALU_DEP_1) | instskip(NEXT) | instid1(VALU_DEP_1)
	v_mul_lo_u16 v1, 0xeb, v3
	v_lshrrev_b16 v4, 13, v1
	s_delay_alu instid0(VALU_DEP_1) | instskip(NEXT) | instid1(VALU_DEP_1)
	v_and_b32_e32 v1, 0xffff, v4
	v_add_nc_u32_e32 v1, v2, v1
	s_delay_alu instid0(VALU_DEP_1)
	v_cmp_gt_u32_e32 vcc_lo, 0x80, v1
	s_and_b32 exec_lo, exec_lo, vcc_lo
	s_cbranch_execz .LBB3_37
; %bb.36:
	v_mul_lo_u16 v2, v4, 35
	s_delay_alu instid0(VALU_DEP_1) | instskip(NEXT) | instid1(VALU_DEP_1)
	v_sub_nc_u16 v2, v3, v2
	v_and_b32_e32 v2, 0xff, v2
	s_delay_alu instid0(VALU_DEP_1) | instskip(SKIP_2) | instid1(VALU_DEP_3)
	v_mad_co_u64_u32 v[3:4], null, v1, s6, v[2:3]
	v_mul_lo_u32 v1, 0x8c, v1
	v_lshlrev_b32_e32 v2, 2, v2
	v_ashrrev_i32_e32 v4, 31, v3
	s_delay_alu instid0(VALU_DEP_2) | instskip(NEXT) | instid1(VALU_DEP_2)
	v_add3_u32 v1, 0, v1, v2
	v_lshlrev_b64_e32 v[3:4], 2, v[3:4]
	s_delay_alu instid0(VALU_DEP_1) | instskip(SKIP_1) | instid1(VALU_DEP_2)
	v_add_co_u32 v3, vcc_lo, s4, v3
	s_wait_alu 0xfffd
	v_add_co_ci_u32_e64 v4, null, s5, v4, vcc_lo
	global_load_b32 v3, v[3:4], off
	s_wait_loadcnt 0x0
	ds_store_b32 v1, v3
.LBB3_37:
	s_or_b32 exec_lo, exec_lo, s8
	s_clause 0x1
	s_load_b128 s[8:11], s[0:1], 0x8
	s_load_b64 s[4:5], s[0:1], 0x28
	s_ashr_i32 s6, s7, 2
	s_ashr_i32 s15, s7, 31
	s_wait_alu 0xfffe
	v_mul_lo_u32 v1, s6, v0
	s_mov_b32 s14, s7
	s_wait_dscnt 0x0
	s_mul_u64 s[6:7], s[2:3], s[14:15]
	s_barrier_signal -1
	s_barrier_wait -1
	global_inv scope:SCOPE_SE
	v_lshlrev_b32_e32 v6, 2, v0
	v_ashrrev_i32_e32 v2, 31, v1
	s_delay_alu instid0(VALU_DEP_1)
	v_lshlrev_b64_e32 v[1:2], 2, v[1:2]
	s_wait_kmcnt 0x0
	s_wait_alu 0xfffe
	s_add_nc_u64 s[6:7], s[8:9], s[6:7]
	s_cmp_eq_u64 s[10:11], 0
	s_wait_alu 0xfffe
	v_add_co_u32 v1, vcc_lo, s6, v1
	s_wait_alu 0xfffd
	v_add_co_ci_u32_e64 v2, null, s7, v2, vcc_lo
	global_load_b128 v[1:4], v[1:2], off
	s_cbranch_scc1 .LBB3_39
; %bb.38:
	s_lshl_b32 s6, s2, 2
	s_mov_b32 s7, 0
	s_wait_alu 0xfffe
	s_add_nc_u64 s[6:7], s[10:11], s[6:7]
	global_load_b32 v9, v6, s[6:7]
	s_branch .LBB3_40
.LBB3_39:
	v_mov_b32_e32 v9, 0
.LBB3_40:
	s_load_b64 s[6:7], s[0:1], 0x40
	s_wait_kmcnt 0x0
	s_sub_nc_u64 s[6:7], s[6:7], s[12:13]
	s_wait_alu 0xfffe
	v_cmp_lt_i64_e64 s8, s[6:7], 1
	s_and_b32 vcc_lo, exec_lo, s8
	s_wait_alu 0xfffe
	s_cbranch_vccnz .LBB3_43
; %bb.41:
	s_load_b96 s[8:10], s[0:1], 0x30
	v_mad_u32_u24 v0, 0x8c, v0, 0
	v_cmp_lt_u64_e64 s16, s[6:7], 32
	ds_load_b32 v5, v0
	s_wait_kmcnt 0x0
	s_mul_i32 s0, s10, ttmp9
	s_ashr_i32 s11, s9, 31
	s_mov_b32 s10, s9
	s_ashr_i32 s1, s0, 31
	s_ashr_i32 s15, s8, 31
	s_mov_b32 s14, s8
	s_mul_u64 s[10:11], s[12:13], s[10:11]
	s_add_nc_u64 s[0:1], s[4:5], s[0:1]
	s_mul_u64 s[2:3], s[2:3], s[14:15]
	s_add_nc_u64 s[0:1], s[0:1], s[10:11]
	s_ashr_i32 s4, s9, 2
	s_add_nc_u64 s[0:1], s[0:1], s[2:3]
	s_wait_alu 0xfffe
	s_ashr_i32 s5, s4, 31
	v_add_co_u32 v7, s0, s0, v6
	s_wait_alu 0xf1ff
	v_add_co_ci_u32_e64 v8, null, s1, 0, s0
	s_and_b32 s0, s16, exec_lo
	s_cselect_b32 s1, s7, 0
	s_cselect_b32 s0, s6, 32
	s_wait_alu 0xfffe
	s_lshl_b64 s[2:3], s[4:5], 2
.LBB3_42:                               ; =>This Inner Loop Header: Depth=1
	s_wait_loadcnt_dscnt 0x0
	v_fma_f32 v10, v1, v5, 0
	ds_load_2addr_b32 v[5:6], v0 offset0:1 offset1:2
	ds_load_b32 v11, v0 offset:12
	v_add_nc_u32_e32 v0, 4, v0
	s_add_nc_u64 s[0:1], s[0:1], -1
	s_wait_alu 0xfffe
	s_cmp_lg_u64 s[0:1], 0
	s_wait_dscnt 0x1
	v_fmac_f32_e32 v10, v2, v5
	s_delay_alu instid0(VALU_DEP_1) | instskip(SKIP_1) | instid1(VALU_DEP_1)
	v_fmac_f32_e32 v10, v3, v6
	s_wait_dscnt 0x0
	v_fmac_f32_e32 v10, v4, v11
	s_delay_alu instid0(VALU_DEP_1) | instskip(NEXT) | instid1(VALU_DEP_1)
	v_add_f32_e32 v6, v9, v10
	v_mul_f32_e32 v10, 0xbfb8aa3b, v6
	v_cmp_nlt_f32_e32 vcc_lo, 0x42ce8ed0, v6
	s_delay_alu instid0(VALU_DEP_2) | instskip(SKIP_1) | instid1(VALU_DEP_1)
	v_fma_f32 v11, 0xbfb8aa3b, v6, -v10
	v_rndne_f32_e32 v12, v10
	v_dual_fmac_f32 v11, 0xb2a5705f, v6 :: v_dual_sub_f32 v10, v10, v12
	s_delay_alu instid0(VALU_DEP_1) | instskip(SKIP_1) | instid1(VALU_DEP_2)
	v_add_f32_e32 v10, v10, v11
	v_cvt_i32_f32_e32 v11, v12
	v_exp_f32_e32 v10, v10
	s_delay_alu instid0(TRANS32_DEP_1) | instskip(SKIP_1) | instid1(VALU_DEP_1)
	v_ldexp_f32 v10, v10, v11
	s_wait_alu 0xfffd
	v_cndmask_b32_e32 v10, 0, v10, vcc_lo
	v_cmp_ngt_f32_e32 vcc_lo, 0xc2b17218, v6
	s_wait_alu 0xfffd
	s_delay_alu instid0(VALU_DEP_2) | instskip(NEXT) | instid1(VALU_DEP_1)
	v_cndmask_b32_e32 v10, 0x7f800000, v10, vcc_lo
	v_add_f32_e32 v10, 1.0, v10
	s_delay_alu instid0(VALU_DEP_1) | instskip(SKIP_1) | instid1(VALU_DEP_2)
	v_div_scale_f32 v11, null, v10, v10, v6
	v_div_scale_f32 v13, vcc_lo, v6, v10, v6
	v_rcp_f32_e32 v12, v11
	s_delay_alu instid0(TRANS32_DEP_1) | instskip(NEXT) | instid1(VALU_DEP_1)
	v_fma_f32 v14, -v11, v12, 1.0
	v_fmac_f32_e32 v12, v14, v12
	s_delay_alu instid0(VALU_DEP_1) | instskip(NEXT) | instid1(VALU_DEP_1)
	v_mul_f32_e32 v14, v13, v12
	v_fma_f32 v15, -v11, v14, v13
	s_delay_alu instid0(VALU_DEP_1) | instskip(NEXT) | instid1(VALU_DEP_1)
	v_fmac_f32_e32 v14, v15, v12
	v_fma_f32 v11, -v11, v14, v13
	s_wait_alu 0xfffd
	s_delay_alu instid0(VALU_DEP_1) | instskip(NEXT) | instid1(VALU_DEP_1)
	v_div_fmas_f32 v11, v11, v12, v14
	v_div_fixup_f32 v6, v11, v10, v6
	global_store_b32 v[7:8], v6, off
	v_add_co_u32 v7, vcc_lo, v7, s2
	s_wait_alu 0xfffd
	v_add_co_ci_u32_e64 v8, null, s3, v8, vcc_lo
	s_cbranch_scc1 .LBB3_42
.LBB3_43:
	s_endpgm
	.section	.rodata,"a",@progbits
	.p2align	6, 0x0
	.amdhsa_kernel _ZL23ssm_conv_long_token_f32ILb1ELm128ELm4ELl32EEvPKfS1_S1_iiiiPfiiil
		.amdhsa_group_segment_fixed_size 0
		.amdhsa_private_segment_fixed_size 0
		.amdhsa_kernarg_size 72
		.amdhsa_user_sgpr_count 2
		.amdhsa_user_sgpr_dispatch_ptr 0
		.amdhsa_user_sgpr_queue_ptr 0
		.amdhsa_user_sgpr_kernarg_segment_ptr 1
		.amdhsa_user_sgpr_dispatch_id 0
		.amdhsa_user_sgpr_private_segment_size 0
		.amdhsa_wavefront_size32 1
		.amdhsa_uses_dynamic_stack 0
		.amdhsa_enable_private_segment 0
		.amdhsa_system_sgpr_workgroup_id_x 1
		.amdhsa_system_sgpr_workgroup_id_y 1
		.amdhsa_system_sgpr_workgroup_id_z 1
		.amdhsa_system_sgpr_workgroup_info 0
		.amdhsa_system_vgpr_workitem_id 0
		.amdhsa_next_free_vgpr 71
		.amdhsa_next_free_sgpr 18
		.amdhsa_reserve_vcc 1
		.amdhsa_float_round_mode_32 0
		.amdhsa_float_round_mode_16_64 0
		.amdhsa_float_denorm_mode_32 3
		.amdhsa_float_denorm_mode_16_64 3
		.amdhsa_fp16_overflow 0
		.amdhsa_workgroup_processor_mode 1
		.amdhsa_memory_ordered 1
		.amdhsa_forward_progress 1
		.amdhsa_inst_pref_size 55
		.amdhsa_round_robin_scheduling 0
		.amdhsa_exception_fp_ieee_invalid_op 0
		.amdhsa_exception_fp_denorm_src 0
		.amdhsa_exception_fp_ieee_div_zero 0
		.amdhsa_exception_fp_ieee_overflow 0
		.amdhsa_exception_fp_ieee_underflow 0
		.amdhsa_exception_fp_ieee_inexact 0
		.amdhsa_exception_int_div_zero 0
	.end_amdhsa_kernel
	.section	.text._ZL23ssm_conv_long_token_f32ILb1ELm128ELm4ELl32EEvPKfS1_S1_iiiiPfiiil,"axG",@progbits,_ZL23ssm_conv_long_token_f32ILb1ELm128ELm4ELl32EEvPKfS1_S1_iiiiPfiiil,comdat
.Lfunc_end3:
	.size	_ZL23ssm_conv_long_token_f32ILb1ELm128ELm4ELl32EEvPKfS1_S1_iiiiPfiiil, .Lfunc_end3-_ZL23ssm_conv_long_token_f32ILb1ELm128ELm4ELl32EEvPKfS1_S1_iiiiPfiiil
                                        ; -- End function
	.set _ZL23ssm_conv_long_token_f32ILb1ELm128ELm4ELl32EEvPKfS1_S1_iiiiPfiiil.num_vgpr, 71
	.set _ZL23ssm_conv_long_token_f32ILb1ELm128ELm4ELl32EEvPKfS1_S1_iiiiPfiiil.num_agpr, 0
	.set _ZL23ssm_conv_long_token_f32ILb1ELm128ELm4ELl32EEvPKfS1_S1_iiiiPfiiil.numbered_sgpr, 18
	.set _ZL23ssm_conv_long_token_f32ILb1ELm128ELm4ELl32EEvPKfS1_S1_iiiiPfiiil.num_named_barrier, 0
	.set _ZL23ssm_conv_long_token_f32ILb1ELm128ELm4ELl32EEvPKfS1_S1_iiiiPfiiil.private_seg_size, 0
	.set _ZL23ssm_conv_long_token_f32ILb1ELm128ELm4ELl32EEvPKfS1_S1_iiiiPfiiil.uses_vcc, 1
	.set _ZL23ssm_conv_long_token_f32ILb1ELm128ELm4ELl32EEvPKfS1_S1_iiiiPfiiil.uses_flat_scratch, 0
	.set _ZL23ssm_conv_long_token_f32ILb1ELm128ELm4ELl32EEvPKfS1_S1_iiiiPfiiil.has_dyn_sized_stack, 0
	.set _ZL23ssm_conv_long_token_f32ILb1ELm128ELm4ELl32EEvPKfS1_S1_iiiiPfiiil.has_recursion, 0
	.set _ZL23ssm_conv_long_token_f32ILb1ELm128ELm4ELl32EEvPKfS1_S1_iiiiPfiiil.has_indirect_call, 0
	.section	.AMDGPU.csdata,"",@progbits
; Kernel info:
; codeLenInByte = 6976
; TotalNumSgprs: 20
; NumVgprs: 71
; ScratchSize: 0
; MemoryBound: 0
; FloatMode: 240
; IeeeMode: 1
; LDSByteSize: 0 bytes/workgroup (compile time only)
; SGPRBlocks: 0
; VGPRBlocks: 8
; NumSGPRsForWavesPerEU: 20
; NumVGPRsForWavesPerEU: 71
; Occupancy: 16
; WaveLimiterHint : 0
; COMPUTE_PGM_RSRC2:SCRATCH_EN: 0
; COMPUTE_PGM_RSRC2:USER_SGPR: 2
; COMPUTE_PGM_RSRC2:TRAP_HANDLER: 0
; COMPUTE_PGM_RSRC2:TGID_X_EN: 1
; COMPUTE_PGM_RSRC2:TGID_Y_EN: 1
; COMPUTE_PGM_RSRC2:TGID_Z_EN: 1
; COMPUTE_PGM_RSRC2:TIDIG_COMP_CNT: 0
	.section	.text._ZL12ssm_conv_f32ILb1ELm128ELm5EEvPKfS1_S1_iiiiPfiiil,"axG",@progbits,_ZL12ssm_conv_f32ILb1ELm128ELm5EEvPKfS1_S1_iiiiPfiiil,comdat
	.globl	_ZL12ssm_conv_f32ILb1ELm128ELm5EEvPKfS1_S1_iiiiPfiiil ; -- Begin function _ZL12ssm_conv_f32ILb1ELm128ELm5EEvPKfS1_S1_iiiiPfiiil
	.p2align	8
	.type	_ZL12ssm_conv_f32ILb1ELm128ELm5EEvPKfS1_S1_iiiiPfiiil,@function
_ZL12ssm_conv_f32ILb1ELm128ELm5EEvPKfS1_S1_iiiiPfiiil: ; @_ZL12ssm_conv_f32ILb1ELm128ELm5EEvPKfS1_S1_iiiiPfiiil
; %bb.0:
	s_load_b64 s[2:3], s[0:1], 0x10
	s_mov_b32 s4, ttmp7
	s_ashr_i32 s5, ttmp7, 31
	v_lshlrev_b32_e32 v10, 2, v0
	s_lshl_b64 s[12:13], s[4:5], 7
	s_wait_kmcnt 0x0
	s_cmp_eq_u64 s[2:3], 0
	s_cbranch_scc1 .LBB4_2
; %bb.1:
	s_lshl_b64 s[4:5], s[12:13], 2
	s_delay_alu instid0(SALU_CYCLE_1)
	s_add_nc_u64 s[2:3], s[2:3], s[4:5]
	global_load_b32 v12, v10, s[2:3]
	s_load_b64 s[2:3], s[0:1], 0x40
	s_wait_kmcnt 0x0
	v_cmp_lt_i64_e64 s4, s[2:3], 1
	s_and_b32 vcc_lo, exec_lo, s4
	s_cbranch_vccz .LBB4_3
	s_branch .LBB4_6
.LBB4_2:
	v_mov_b32_e32 v12, 0
	s_load_b64 s[2:3], s[0:1], 0x40
	s_wait_kmcnt 0x0
	v_cmp_lt_i64_e64 s4, s[2:3], 1
	s_and_b32 vcc_lo, exec_lo, s4
	s_cbranch_vccnz .LBB4_6
.LBB4_3:
	s_clause 0x1
	s_load_b96 s[8:10], s[0:1], 0x1c
	s_load_b128 s[4:7], s[0:1], 0x0
	s_wait_kmcnt 0x0
	s_ashr_i32 s11, s10, 2
	s_ashr_i32 s14, s8, 2
	v_mul_lo_u32 v1, s11, v0
	v_mul_lo_u32 v3, s14, v0
	s_ashr_i32 s11, s10, 31
	s_mul_i32 s14, s9, ttmp9
	s_ashr_i32 s9, s8, 31
	s_wait_alu 0xfffe
	s_mul_u64 s[10:11], s[12:13], s[10:11]
	s_ashr_i32 s15, s14, 31
	s_mul_u64 s[8:9], s[12:13], s[8:9]
	v_ashrrev_i32_e32 v2, 31, v1
	v_ashrrev_i32_e32 v4, 31, v3
	s_wait_alu 0xfffe
	s_add_nc_u64 s[4:5], s[4:5], s[14:15]
	s_add_nc_u64 s[6:7], s[6:7], s[10:11]
	;; [unrolled: 1-line block ×3, first 2 shown]
	v_lshlrev_b64_e32 v[0:1], 2, v[1:2]
	v_lshlrev_b64_e32 v[2:3], 2, v[3:4]
	s_delay_alu instid0(VALU_DEP_2) | instskip(NEXT) | instid1(VALU_DEP_1)
	v_add_co_u32 v14, vcc_lo, s6, v0
	v_add_co_ci_u32_e64 v15, null, s7, v1, vcc_lo
	s_delay_alu instid0(VALU_DEP_3) | instskip(SKIP_1) | instid1(VALU_DEP_4)
	v_add_co_u32 v8, vcc_lo, s4, v2
	s_wait_alu 0xfffd
	v_add_co_ci_u32_e64 v9, null, s5, v3, vcc_lo
	global_load_b128 v[0:3], v[14:15], off
	s_clause 0x1
	global_load_b128 v[4:7], v[8:9], off
	global_load_b32 v13, v[8:9], off offset:16
	global_load_b32 v14, v[14:15], off offset:16
	s_clause 0x1
	s_load_b96 s[4:6], s[0:1], 0x30
	s_load_b64 s[0:1], s[0:1], 0x28
	s_wait_kmcnt 0x0
	s_mul_i32 s6, s6, ttmp9
	s_ashr_i32 s9, s4, 31
	s_wait_alu 0xfffe
	s_ashr_i32 s7, s6, 31
	s_mov_b32 s8, s4
	s_wait_alu 0xfffe
	s_add_nc_u64 s[0:1], s[0:1], s[6:7]
	s_mul_u64 s[8:9], s[12:13], s[8:9]
	s_cmp_eq_u64 s[2:3], 1
	s_add_nc_u64 s[6:7], s[0:1], s[8:9]
	s_wait_loadcnt 0x2
	v_fma_f32 v11, v0, v4, 0
	s_delay_alu instid0(VALU_DEP_1) | instskip(NEXT) | instid1(VALU_DEP_1)
	v_fmac_f32_e32 v11, v1, v5
	v_fmac_f32_e32 v11, v2, v6
	s_delay_alu instid0(VALU_DEP_1) | instskip(SKIP_1) | instid1(VALU_DEP_1)
	v_fmac_f32_e32 v11, v3, v7
	s_wait_loadcnt 0x0
	v_fmac_f32_e32 v11, v14, v13
	s_delay_alu instid0(VALU_DEP_1) | instskip(NEXT) | instid1(VALU_DEP_1)
	v_add_f32_e32 v11, v12, v11
	v_mul_f32_e32 v15, 0xbfb8aa3b, v11
	v_cmp_nlt_f32_e32 vcc_lo, 0x42ce8ed0, v11
	s_delay_alu instid0(VALU_DEP_2) | instskip(SKIP_1) | instid1(VALU_DEP_1)
	v_fma_f32 v16, 0xbfb8aa3b, v11, -v15
	v_rndne_f32_e32 v17, v15
	v_dual_fmac_f32 v16, 0xb2a5705f, v11 :: v_dual_sub_f32 v15, v15, v17
	s_delay_alu instid0(VALU_DEP_1) | instskip(SKIP_1) | instid1(VALU_DEP_2)
	v_add_f32_e32 v15, v15, v16
	v_cvt_i32_f32_e32 v16, v17
	v_exp_f32_e32 v15, v15
	s_delay_alu instid0(TRANS32_DEP_1) | instskip(SKIP_1) | instid1(VALU_DEP_1)
	v_ldexp_f32 v15, v15, v16
	s_wait_alu 0xfffd
	v_cndmask_b32_e32 v15, 0, v15, vcc_lo
	v_cmp_ngt_f32_e32 vcc_lo, 0xc2b17218, v11
	s_wait_alu 0xfffd
	s_delay_alu instid0(VALU_DEP_2) | instskip(NEXT) | instid1(VALU_DEP_1)
	v_cndmask_b32_e32 v15, 0x7f800000, v15, vcc_lo
	v_add_f32_e32 v15, 1.0, v15
	s_delay_alu instid0(VALU_DEP_1) | instskip(NEXT) | instid1(VALU_DEP_1)
	v_div_scale_f32 v16, null, v15, v15, v11
	v_rcp_f32_e32 v17, v16
	s_delay_alu instid0(TRANS32_DEP_1) | instskip(NEXT) | instid1(VALU_DEP_1)
	v_fma_f32 v18, -v16, v17, 1.0
	v_fmac_f32_e32 v17, v18, v17
	v_div_scale_f32 v18, vcc_lo, v11, v15, v11
	s_delay_alu instid0(VALU_DEP_1) | instskip(NEXT) | instid1(VALU_DEP_1)
	v_mul_f32_e32 v19, v18, v17
	v_fma_f32 v20, -v16, v19, v18
	s_delay_alu instid0(VALU_DEP_1) | instskip(NEXT) | instid1(VALU_DEP_1)
	v_fmac_f32_e32 v19, v20, v17
	v_fma_f32 v16, -v16, v19, v18
	s_wait_alu 0xfffd
	s_delay_alu instid0(VALU_DEP_1) | instskip(NEXT) | instid1(VALU_DEP_1)
	v_div_fmas_f32 v16, v16, v17, v19
	v_div_fixup_f32 v11, v16, v15, v11
	global_store_b32 v10, v11, s[6:7]
	s_cbranch_scc1 .LBB4_6
; %bb.4:
	s_ashr_i32 s4, s5, 2
	s_add_nc_u64 s[6:7], s[2:3], -1
	s_wait_alu 0xfffe
	s_ashr_i32 s5, s4, 31
	v_add_co_u32 v8, vcc_lo, v8, 20
	s_wait_alu 0xfffe
	s_lshl_b64 s[4:5], s[4:5], 2
	s_wait_alu 0xfffd
	v_add_co_ci_u32_e64 v9, null, 0, v9, vcc_lo
	s_wait_alu 0xfffe
	s_add_nc_u64 s[2:3], s[8:9], s[4:5]
	s_mov_b64 s[8:9], 1
	s_wait_alu 0xfffe
	s_add_nc_u64 s[0:1], s[0:1], s[2:3]
	s_mov_b64 s[10:11], 5
	v_add_co_u32 v10, s0, s0, v10
	s_wait_alu 0xf1ff
	v_add_co_ci_u32_e64 v11, null, s1, 0, s0
	s_mov_b64 s[12:13], 4
	s_mov_b64 s[14:15], 0xcccccccd
	;; [unrolled: 1-line block ×6, first 2 shown]
	s_mov_b32 s25, 0
.LBB4_5:                                ; =>This Inner Loop Header: Depth=1
	global_load_b32 v15, v[8:9], off
	s_mov_b32 s24, s9
	s_mov_b32 s60, s8
	;; [unrolled: 1-line block ×3, first 2 shown]
	s_wait_alu 0xfffe
	s_mov_b32 s62, s10
	s_mov_b32 s63, s25
	s_mul_u64 s[72:73], s[24:25], s[14:15]
	s_mul_u64 s[74:75], s[60:61], s[14:15]
	;; [unrolled: 1-line block ×3, first 2 shown]
	s_mov_b32 s24, s11
	s_mul_u64 s[78:79], s[62:63], s[14:15]
	s_mov_b32 s55, s25
	s_mov_b32 s59, s25
	;; [unrolled: 1-line block ×4, first 2 shown]
	s_mul_u64 s[88:89], s[24:25], s[14:15]
	s_mul_u64 s[90:91], s[24:25], s[16:17]
	s_mov_b32 s24, s13
	s_mov_b32 s54, s75
	;; [unrolled: 1-line block ×5, first 2 shown]
	s_mul_u64 s[82:83], s[66:67], s[14:15]
	s_mul_u64 s[92:93], s[24:25], s[14:15]
	;; [unrolled: 1-line block ×3, first 2 shown]
	s_mov_b32 s24, s19
	s_add_nc_u64 s[54:55], s[72:73], s[54:55]
	s_add_nc_u64 s[58:59], s[88:89], s[58:59]
	s_mul_u64 s[80:81], s[64:65], s[14:15]
	s_mov_b32 s53, s25
	s_mov_b32 s70, s22
	;; [unrolled: 1-line block ×3, first 2 shown]
	s_mul_u64 s[60:61], s[60:61], s[16:17]
	s_mul_u64 s[62:63], s[62:63], s[16:17]
	s_mov_b32 s52, s83
	s_mul_u64 s[74:75], s[24:25], s[14:15]
	s_mul_u64 s[78:79], s[24:25], s[16:17]
	s_mov_b32 s24, s21
	s_mov_b32 s36, s55
	;; [unrolled: 1-line block ×9, first 2 shown]
	s_mul_u64 s[86:87], s[70:71], s[14:15]
	s_mul_u64 s[72:73], s[24:25], s[14:15]
	;; [unrolled: 1-line block ×3, first 2 shown]
	s_mov_b32 s24, s23
	s_add_nc_u64 s[54:55], s[60:61], s[54:55]
	s_add_nc_u64 s[58:59], s[62:63], s[58:59]
	;; [unrolled: 1-line block ×3, first 2 shown]
	s_mul_u64 s[84:85], s[68:69], s[14:15]
	s_add_nc_u64 s[56:57], s[92:93], s[56:57]
	s_mov_b32 s37, s25
	s_mov_b32 s39, s25
	;; [unrolled: 1-line block ×5, first 2 shown]
	s_mul_u64 s[66:67], s[66:67], s[16:17]
	s_mov_b32 s48, s87
	s_mul_u64 s[82:83], s[24:25], s[14:15]
	s_mov_b32 s38, s55
	s_mov_b32 s46, s59
	;; [unrolled: 1-line block ×5, first 2 shown]
	s_mul_u64 s[64:65], s[64:65], s[16:17]
	s_mov_b32 s50, s85
	s_mov_b32 s40, s57
	;; [unrolled: 1-line block ×3, first 2 shown]
	s_add_nc_u64 s[36:37], s[36:37], s[38:39]
	s_add_nc_u64 s[38:39], s[44:45], s[46:47]
	;; [unrolled: 1-line block ×6, first 2 shown]
	s_mov_b32 s31, s25
	s_mov_b32 s35, s25
	s_mul_u64 s[70:71], s[70:71], s[16:17]
	s_mov_b32 s34, s45
	s_mov_b32 s0, s47
	;; [unrolled: 1-line block ×5, first 2 shown]
	s_mul_u64 s[68:69], s[68:69], s[16:17]
	s_mov_b32 s42, s55
	s_mov_b32 s26, s51
	;; [unrolled: 1-line block ×3, first 2 shown]
	s_add_nc_u64 s[30:31], s[30:31], s[34:35]
	s_add_nc_u64 s[34:35], s[70:71], s[46:47]
	;; [unrolled: 1-line block ×4, first 2 shown]
	s_mov_b32 s1, s25
	s_mov_b32 s3, s25
	;; [unrolled: 1-line block ×6, first 2 shown]
	s_mul_u64 s[84:85], s[24:25], s[16:17]
	s_wait_alu 0xfffe
	s_add_nc_u64 s[0:1], s[0:1], s[2:3]
	s_add_nc_u64 s[36:37], s[76:77], s[36:37]
	;; [unrolled: 1-line block ×3, first 2 shown]
	s_wait_alu 0xfffe
	s_add_nc_u64 s[0:1], s[84:85], s[0:1]
	s_add_nc_u64 s[38:39], s[90:91], s[38:39]
	s_lshr_b64 s[36:37], s[36:37], 2
	s_add_nc_u64 s[40:41], s[94:95], s[40:41]
	s_add_nc_u64 s[30:31], s[78:79], s[30:31]
	;; [unrolled: 1-line block ×3, first 2 shown]
	s_wait_alu 0xfffe
	s_lshr_b64 s[0:1], s[0:1], 2
	s_lshr_b64 s[38:39], s[38:39], 2
	s_mul_i32 s24, s36, 5
	s_lshr_b64 s[36:37], s[40:41], 2
	s_lshr_b64 s[28:29], s[30:31], 2
	;; [unrolled: 1-line block ×3, first 2 shown]
	s_wait_alu 0xfffe
	s_mul_i32 s0, s0, 5
	s_mul_i32 s33, s38, 5
	;; [unrolled: 1-line block ×5, first 2 shown]
	s_wait_alu 0xfffe
	s_sub_co_i32 s3, s22, s0
	s_sub_co_i32 s24, s8, s24
	;; [unrolled: 1-line block ×6, first 2 shown]
	v_add_co_u32 v8, vcc_lo, v8, 4
	s_wait_alu 0xfffe
	s_cmp_eq_u32 s3, 4
	s_wait_alu 0xfffd
	v_add_co_ci_u32_e64 v9, null, 0, v9, vcc_lo
	s_cselect_b32 vcc_lo, -1, 0
	s_cmp_eq_u32 s3, 3
	s_add_nc_u64 s[6:7], s[6:7], -1
	s_cselect_b32 s0, -1, 0
	s_cmp_eq_u32 s3, 2
	s_add_nc_u64 s[8:9], s[8:9], 1
	s_cselect_b32 s1, -1, 0
	s_cmp_eq_u32 s3, 1
	s_add_nc_u64 s[10:11], s[10:11], 1
	;; [unrolled: 3-line block ×4, first 2 shown]
	s_add_nc_u64 s[20:21], s[20:21], 1
	s_add_nc_u64 s[22:23], s[22:23], 1
	s_wait_loadcnt 0x0
	s_wait_alu 0xfffe
	v_cndmask_b32_e64 v5, v5, v15, s2
	v_cndmask_b32_e64 v4, v4, v15, s3
	v_cndmask_b32_e32 v13, v13, v15, vcc_lo
	s_cselect_b32 vcc_lo, -1, 0
	v_cndmask_b32_e64 v7, v7, v15, s0
	v_cndmask_b32_e64 v6, v6, v15, s1
	s_wait_alu 0xfffe
	v_cndmask_b32_e32 v15, v4, v5, vcc_lo
	s_cmp_eq_u32 s24, 2
	s_cselect_b32 vcc_lo, -1, 0
	s_cmp_eq_u32 s24, 3
	s_wait_alu 0xfffe
	v_cndmask_b32_e32 v15, v15, v6, vcc_lo
	s_cselect_b32 vcc_lo, -1, 0
	s_cmp_eq_u32 s24, 4
	s_wait_alu 0xfffe
	s_delay_alu instid0(VALU_DEP_1)
	v_cndmask_b32_e32 v15, v15, v7, vcc_lo
	s_cselect_b32 vcc_lo, -1, 0
	s_cmp_eq_u32 s27, 1
	s_cselect_b32 s0, -1, 0
	s_cmp_eq_u32 s27, 2
	s_wait_alu 0xfffe
	v_cndmask_b32_e64 v16, v4, v5, s0
	s_cselect_b32 s0, -1, 0
	s_cmp_eq_u32 s27, 3
	v_cndmask_b32_e32 v15, v15, v13, vcc_lo
	s_cselect_b32 vcc_lo, -1, 0
	s_wait_alu 0xfffe
	v_cndmask_b32_e64 v16, v16, v6, s0
	s_cmp_eq_u32 s27, 4
	v_fma_f32 v15, v0, v15, 0
	s_delay_alu instid0(VALU_DEP_2)
	v_cndmask_b32_e32 v16, v16, v7, vcc_lo
	s_cselect_b32 vcc_lo, -1, 0
	s_cmp_eq_u32 s26, 1
	s_cselect_b32 s0, -1, 0
	s_cmp_eq_u32 s26, 2
	s_wait_alu 0xfffe
	v_cndmask_b32_e64 v17, v4, v5, s0
	s_cselect_b32 s0, -1, 0
	v_cndmask_b32_e32 v16, v16, v13, vcc_lo
	s_cmp_eq_u32 s26, 3
	s_wait_alu 0xfffe
	v_cndmask_b32_e64 v17, v17, v6, s0
	s_cselect_b32 vcc_lo, -1, 0
	s_cmp_eq_u32 s26, 4
	v_fmac_f32_e32 v15, v1, v16
	s_wait_alu 0xfffe
	v_cndmask_b32_e32 v16, v17, v7, vcc_lo
	s_cselect_b32 vcc_lo, -1, 0
	s_cmp_eq_u32 s29, 1
	s_cselect_b32 s0, -1, 0
	s_cmp_eq_u32 s29, 2
	s_wait_alu 0xfffe
	v_cndmask_b32_e64 v17, v4, v5, s0
	s_cselect_b32 s0, -1, 0
	v_cndmask_b32_e32 v16, v16, v13, vcc_lo
	s_cmp_eq_u32 s29, 3
	s_wait_alu 0xfffe
	v_cndmask_b32_e64 v17, v17, v6, s0
	s_cselect_b32 vcc_lo, -1, 0
	s_cmp_eq_u32 s29, 4
	s_wait_alu 0xfffe
	s_delay_alu instid0(VALU_DEP_1)
	v_dual_fmac_f32 v15, v2, v16 :: v_dual_cndmask_b32 v16, v17, v7
	s_cselect_b32 vcc_lo, -1, 0
	s_cmp_eq_u32 s33, 1
	s_cselect_b32 s0, -1, 0
	s_cmp_eq_u32 s33, 2
	s_wait_alu 0xfffe
	v_cndmask_b32_e64 v17, v4, v5, s0
	s_cselect_b32 s0, -1, 0
	v_cndmask_b32_e32 v16, v16, v13, vcc_lo
	s_cmp_eq_u32 s33, 3
	s_wait_alu 0xfffe
	v_cndmask_b32_e64 v17, v17, v6, s0
	s_cselect_b32 vcc_lo, -1, 0
	v_fmac_f32_e32 v15, v3, v16
	s_cmp_eq_u32 s33, 4
	s_wait_alu 0xfffe
	v_cndmask_b32_e32 v16, v17, v7, vcc_lo
	s_cselect_b32 vcc_lo, -1, 0
	s_cmp_eq_u64 s[6:7], 0
	s_wait_alu 0xfffe
	s_delay_alu instid0(VALU_DEP_1) | instskip(NEXT) | instid1(VALU_DEP_1)
	v_cndmask_b32_e32 v16, v16, v13, vcc_lo
	v_fmac_f32_e32 v15, v14, v16
	s_delay_alu instid0(VALU_DEP_1) | instskip(NEXT) | instid1(VALU_DEP_1)
	v_add_f32_e32 v15, v12, v15
	v_mul_f32_e32 v16, 0xbfb8aa3b, v15
	v_cmp_nlt_f32_e32 vcc_lo, 0x42ce8ed0, v15
	s_delay_alu instid0(VALU_DEP_2) | instskip(SKIP_1) | instid1(VALU_DEP_1)
	v_fma_f32 v17, 0xbfb8aa3b, v15, -v16
	v_rndne_f32_e32 v18, v16
	v_dual_fmac_f32 v17, 0xb2a5705f, v15 :: v_dual_sub_f32 v16, v16, v18
	s_delay_alu instid0(VALU_DEP_1) | instskip(SKIP_1) | instid1(VALU_DEP_2)
	v_add_f32_e32 v16, v16, v17
	v_cvt_i32_f32_e32 v17, v18
	v_exp_f32_e32 v16, v16
	s_delay_alu instid0(TRANS32_DEP_1) | instskip(SKIP_1) | instid1(VALU_DEP_1)
	v_ldexp_f32 v16, v16, v17
	s_wait_alu 0xfffd
	v_cndmask_b32_e32 v16, 0, v16, vcc_lo
	v_cmp_ngt_f32_e32 vcc_lo, 0xc2b17218, v15
	s_wait_alu 0xfffd
	s_delay_alu instid0(VALU_DEP_2) | instskip(NEXT) | instid1(VALU_DEP_1)
	v_cndmask_b32_e32 v16, 0x7f800000, v16, vcc_lo
	v_add_f32_e32 v16, 1.0, v16
	s_delay_alu instid0(VALU_DEP_1) | instskip(SKIP_1) | instid1(VALU_DEP_2)
	v_div_scale_f32 v17, null, v16, v16, v15
	v_div_scale_f32 v19, vcc_lo, v15, v16, v15
	v_rcp_f32_e32 v18, v17
	s_delay_alu instid0(TRANS32_DEP_1) | instskip(NEXT) | instid1(VALU_DEP_1)
	v_fma_f32 v20, -v17, v18, 1.0
	v_fmac_f32_e32 v18, v20, v18
	s_delay_alu instid0(VALU_DEP_1) | instskip(NEXT) | instid1(VALU_DEP_1)
	v_mul_f32_e32 v20, v19, v18
	v_fma_f32 v21, -v17, v20, v19
	s_delay_alu instid0(VALU_DEP_1) | instskip(NEXT) | instid1(VALU_DEP_1)
	v_fmac_f32_e32 v20, v21, v18
	v_fma_f32 v17, -v17, v20, v19
	s_wait_alu 0xfffd
	s_delay_alu instid0(VALU_DEP_1) | instskip(NEXT) | instid1(VALU_DEP_1)
	v_div_fmas_f32 v17, v17, v18, v20
	v_div_fixup_f32 v15, v17, v16, v15
	global_store_b32 v[10:11], v15, off
	v_add_co_u32 v10, vcc_lo, v10, s4
	s_wait_alu 0xfffd
	v_add_co_ci_u32_e64 v11, null, s5, v11, vcc_lo
	s_cbranch_scc0 .LBB4_5
.LBB4_6:
	s_endpgm
	.section	.rodata,"a",@progbits
	.p2align	6, 0x0
	.amdhsa_kernel _ZL12ssm_conv_f32ILb1ELm128ELm5EEvPKfS1_S1_iiiiPfiiil
		.amdhsa_group_segment_fixed_size 0
		.amdhsa_private_segment_fixed_size 0
		.amdhsa_kernarg_size 72
		.amdhsa_user_sgpr_count 2
		.amdhsa_user_sgpr_dispatch_ptr 0
		.amdhsa_user_sgpr_queue_ptr 0
		.amdhsa_user_sgpr_kernarg_segment_ptr 1
		.amdhsa_user_sgpr_dispatch_id 0
		.amdhsa_user_sgpr_private_segment_size 0
		.amdhsa_wavefront_size32 1
		.amdhsa_uses_dynamic_stack 0
		.amdhsa_enable_private_segment 0
		.amdhsa_system_sgpr_workgroup_id_x 1
		.amdhsa_system_sgpr_workgroup_id_y 1
		.amdhsa_system_sgpr_workgroup_id_z 0
		.amdhsa_system_sgpr_workgroup_info 0
		.amdhsa_system_vgpr_workitem_id 0
		.amdhsa_next_free_vgpr 22
		.amdhsa_next_free_sgpr 96
		.amdhsa_reserve_vcc 1
		.amdhsa_float_round_mode_32 0
		.amdhsa_float_round_mode_16_64 0
		.amdhsa_float_denorm_mode_32 3
		.amdhsa_float_denorm_mode_16_64 3
		.amdhsa_fp16_overflow 0
		.amdhsa_workgroup_processor_mode 1
		.amdhsa_memory_ordered 1
		.amdhsa_forward_progress 1
		.amdhsa_inst_pref_size 17
		.amdhsa_round_robin_scheduling 0
		.amdhsa_exception_fp_ieee_invalid_op 0
		.amdhsa_exception_fp_denorm_src 0
		.amdhsa_exception_fp_ieee_div_zero 0
		.amdhsa_exception_fp_ieee_overflow 0
		.amdhsa_exception_fp_ieee_underflow 0
		.amdhsa_exception_fp_ieee_inexact 0
		.amdhsa_exception_int_div_zero 0
	.end_amdhsa_kernel
	.section	.text._ZL12ssm_conv_f32ILb1ELm128ELm5EEvPKfS1_S1_iiiiPfiiil,"axG",@progbits,_ZL12ssm_conv_f32ILb1ELm128ELm5EEvPKfS1_S1_iiiiPfiiil,comdat
.Lfunc_end4:
	.size	_ZL12ssm_conv_f32ILb1ELm128ELm5EEvPKfS1_S1_iiiiPfiiil, .Lfunc_end4-_ZL12ssm_conv_f32ILb1ELm128ELm5EEvPKfS1_S1_iiiiPfiiil
                                        ; -- End function
	.set _ZL12ssm_conv_f32ILb1ELm128ELm5EEvPKfS1_S1_iiiiPfiiil.num_vgpr, 22
	.set _ZL12ssm_conv_f32ILb1ELm128ELm5EEvPKfS1_S1_iiiiPfiiil.num_agpr, 0
	.set _ZL12ssm_conv_f32ILb1ELm128ELm5EEvPKfS1_S1_iiiiPfiiil.numbered_sgpr, 96
	.set _ZL12ssm_conv_f32ILb1ELm128ELm5EEvPKfS1_S1_iiiiPfiiil.num_named_barrier, 0
	.set _ZL12ssm_conv_f32ILb1ELm128ELm5EEvPKfS1_S1_iiiiPfiiil.private_seg_size, 0
	.set _ZL12ssm_conv_f32ILb1ELm128ELm5EEvPKfS1_S1_iiiiPfiiil.uses_vcc, 1
	.set _ZL12ssm_conv_f32ILb1ELm128ELm5EEvPKfS1_S1_iiiiPfiiil.uses_flat_scratch, 0
	.set _ZL12ssm_conv_f32ILb1ELm128ELm5EEvPKfS1_S1_iiiiPfiiil.has_dyn_sized_stack, 0
	.set _ZL12ssm_conv_f32ILb1ELm128ELm5EEvPKfS1_S1_iiiiPfiiil.has_recursion, 0
	.set _ZL12ssm_conv_f32ILb1ELm128ELm5EEvPKfS1_S1_iiiiPfiiil.has_indirect_call, 0
	.section	.AMDGPU.csdata,"",@progbits
; Kernel info:
; codeLenInByte = 2096
; TotalNumSgprs: 98
; NumVgprs: 22
; ScratchSize: 0
; MemoryBound: 0
; FloatMode: 240
; IeeeMode: 1
; LDSByteSize: 0 bytes/workgroup (compile time only)
; SGPRBlocks: 0
; VGPRBlocks: 2
; NumSGPRsForWavesPerEU: 98
; NumVGPRsForWavesPerEU: 22
; Occupancy: 16
; WaveLimiterHint : 0
; COMPUTE_PGM_RSRC2:SCRATCH_EN: 0
; COMPUTE_PGM_RSRC2:USER_SGPR: 2
; COMPUTE_PGM_RSRC2:TRAP_HANDLER: 0
; COMPUTE_PGM_RSRC2:TGID_X_EN: 1
; COMPUTE_PGM_RSRC2:TGID_Y_EN: 1
; COMPUTE_PGM_RSRC2:TGID_Z_EN: 0
; COMPUTE_PGM_RSRC2:TIDIG_COMP_CNT: 0
	.section	.text._ZL23ssm_conv_long_token_f32ILb1ELm128ELm5ELl32EEvPKfS1_S1_iiiiPfiiil,"axG",@progbits,_ZL23ssm_conv_long_token_f32ILb1ELm128ELm5ELl32EEvPKfS1_S1_iiiiPfiiil,comdat
	.globl	_ZL23ssm_conv_long_token_f32ILb1ELm128ELm5ELl32EEvPKfS1_S1_iiiiPfiiil ; -- Begin function _ZL23ssm_conv_long_token_f32ILb1ELm128ELm5ELl32EEvPKfS1_S1_iiiiPfiiil
	.p2align	8
	.type	_ZL23ssm_conv_long_token_f32ILb1ELm128ELm5ELl32EEvPKfS1_S1_iiiiPfiiil,@function
_ZL23ssm_conv_long_token_f32ILb1ELm128ELm5ELl32EEvPKfS1_S1_iiiiPfiiil: ; @_ZL23ssm_conv_long_token_f32ILb1ELm128ELm5ELl32EEvPKfS1_S1_iiiiPfiiil
; %bb.0:
	v_mul_u32_u24_e32 v1, 0x71d, v0
	s_clause 0x1
	s_load_b128 s[4:7], s[0:1], 0x18
	s_load_b64 s[8:9], s[0:1], 0x0
	s_lshr_b32 s10, ttmp7, 11
	s_and_b32 s2, ttmp7, 0xffff
	v_lshrrev_b32_e32 v13, 16, v1
	s_and_b32 s12, s10, 0x1fffe0
	s_mov_b32 s3, 0
	s_lshl_b32 s2, s2, 7
	s_mov_b32 s13, s3
	v_mul_lo_u16 v1, v13, 36
	s_delay_alu instid0(VALU_DEP_1) | instskip(NEXT) | instid1(VALU_DEP_1)
	v_sub_nc_u16 v14, v0, v1
	v_or_b32_e32 v1, 0x80, v14
	s_wait_kmcnt 0x0
	s_mul_i32 s10, s6, ttmp9
	s_ashr_i32 s6, s5, 2
	v_and_b32_e32 v14, 0xffff, v14
	s_ashr_i32 s15, s5, 31
	v_mul_lo_u16 v2, v1, 57
	s_mov_b32 s14, s5
	s_ashr_i32 s11, s10, 31
	s_ashr_i32 s17, s4, 31
	s_mov_b32 s16, s4
	v_lshrrev_b16 v15, 11, v2
	s_mul_u64 s[4:5], s[2:3], s[14:15]
	s_add_nc_u64 s[8:9], s[8:9], s[10:11]
	s_mul_u64 s[10:11], s[12:13], s[16:17]
	s_add_nc_u64 s[4:5], s[8:9], s[4:5]
	v_mul_lo_u16 v2, v15, 36
	v_and_b32_e32 v18, 0xffff, v15
	s_add_nc_u64 s[4:5], s[4:5], s[10:11]
	s_mov_b32 s8, exec_lo
	s_delay_alu instid0(VALU_DEP_2) | instskip(NEXT) | instid1(VALU_DEP_2)
	v_sub_nc_u16 v1, v1, v2
	v_add_nc_u32_e32 v43, v13, v18
	s_delay_alu instid0(VALU_DEP_2) | instskip(NEXT) | instid1(VALU_DEP_1)
	v_and_b32_e32 v1, 0xff, v1
	v_or_b32_e32 v2, 0x80, v1
	s_delay_alu instid0(VALU_DEP_1) | instskip(NEXT) | instid1(VALU_DEP_1)
	v_mul_lo_u16 v3, v2, 57
	v_lshrrev_b16 v19, 11, v3
	s_delay_alu instid0(VALU_DEP_1) | instskip(NEXT) | instid1(VALU_DEP_1)
	v_mul_lo_u16 v3, v19, 36
	v_sub_nc_u16 v2, v2, v3
	s_delay_alu instid0(VALU_DEP_1) | instskip(NEXT) | instid1(VALU_DEP_1)
	v_and_b32_e32 v2, 0xff, v2
	v_or_b32_e32 v3, 0x80, v2
	s_delay_alu instid0(VALU_DEP_1) | instskip(NEXT) | instid1(VALU_DEP_1)
	v_mul_lo_u16 v4, v3, 57
	v_lshrrev_b16 v22, 11, v4
	s_delay_alu instid0(VALU_DEP_1) | instskip(NEXT) | instid1(VALU_DEP_1)
	v_mul_lo_u16 v4, v22, 36
	v_sub_nc_u16 v3, v3, v4
	s_delay_alu instid0(VALU_DEP_1) | instskip(NEXT) | instid1(VALU_DEP_1)
	;; [unrolled: 9-line block ×6, first 2 shown]
	v_and_b32_e32 v7, 0xff, v7
	v_or_b32_e32 v8, 0x80, v7
	s_delay_alu instid0(VALU_DEP_1) | instskip(NEXT) | instid1(VALU_DEP_1)
	v_mul_lo_u16 v9, v8, 57
	v_lshrrev_b16 v33, 11, v9
	s_delay_alu instid0(VALU_DEP_1) | instskip(SKIP_1) | instid1(VALU_DEP_2)
	v_mul_lo_u16 v9, v33, 36
	v_and_b32_e32 v36, 0xffff, v33
	v_sub_nc_u16 v8, v8, v9
	s_delay_alu instid0(VALU_DEP_1) | instskip(NEXT) | instid1(VALU_DEP_1)
	v_and_b32_e32 v8, 0xff, v8
	v_or_b32_e32 v9, 0x80, v8
	s_delay_alu instid0(VALU_DEP_1) | instskip(NEXT) | instid1(VALU_DEP_1)
	v_mul_lo_u16 v10, v9, 57
	v_lshrrev_b16 v34, 11, v10
	s_delay_alu instid0(VALU_DEP_1) | instskip(SKIP_1) | instid1(VALU_DEP_2)
	v_mul_lo_u16 v10, v34, 36
	v_and_b32_e32 v34, 0xffff, v34
	v_sub_nc_u16 v9, v9, v10
	s_delay_alu instid0(VALU_DEP_1) | instskip(NEXT) | instid1(VALU_DEP_1)
	v_and_b32_e32 v9, 0xff, v9
	v_or_b32_e32 v10, 0x80, v9
	s_delay_alu instid0(VALU_DEP_1) | instskip(NEXT) | instid1(VALU_DEP_1)
	v_mul_lo_u16 v11, v10, 57
	v_lshrrev_b16 v38, 11, v11
	s_delay_alu instid0(VALU_DEP_1) | instskip(NEXT) | instid1(VALU_DEP_1)
	v_mul_lo_u16 v11, v38, 36
	v_sub_nc_u16 v10, v10, v11
	s_delay_alu instid0(VALU_DEP_1) | instskip(NEXT) | instid1(VALU_DEP_1)
	v_and_b32_e32 v10, 0xff, v10
	v_or_b32_e32 v11, 0x80, v10
	s_delay_alu instid0(VALU_DEP_1) | instskip(NEXT) | instid1(VALU_DEP_1)
	v_mul_lo_u16 v12, v11, 57
	v_lshrrev_b16 v40, 11, v12
	s_delay_alu instid0(VALU_DEP_1) | instskip(NEXT) | instid1(VALU_DEP_1)
	v_mul_lo_u16 v12, v40, 36
	v_sub_nc_u16 v11, v11, v12
	s_delay_alu instid0(VALU_DEP_1) | instskip(NEXT) | instid1(VALU_DEP_1)
	v_and_b32_e32 v11, 0xff, v11
	v_or_b32_e32 v12, 0x80, v11
	s_delay_alu instid0(VALU_DEP_1) | instskip(NEXT) | instid1(VALU_DEP_1)
	v_mul_lo_u16 v16, v12, 57
	v_lshrrev_b16 v41, 11, v16
	s_delay_alu instid0(VALU_DEP_1) | instskip(NEXT) | instid1(VALU_DEP_1)
	v_mul_lo_u16 v16, v41, 36
	v_sub_nc_u16 v12, v12, v16
	s_delay_alu instid0(VALU_DEP_1) | instskip(NEXT) | instid1(VALU_DEP_1)
	v_and_b32_e32 v12, 0xff, v12
	v_or_b32_e32 v17, 0x80, v12
	s_delay_alu instid0(VALU_DEP_1) | instskip(NEXT) | instid1(VALU_DEP_1)
	v_mul_lo_u16 v16, v17, 57
	v_lshrrev_b16 v42, 11, v16
	v_mad_co_u64_u32 v[15:16], null, s6, v13, v[14:15]
	v_lshlrev_b32_e32 v14, 2, v14
	s_delay_alu instid0(VALU_DEP_3) | instskip(NEXT) | instid1(VALU_DEP_3)
	v_mul_lo_u16 v20, v42, 36
	v_ashrrev_i32_e32 v16, 31, v15
	s_delay_alu instid0(VALU_DEP_2) | instskip(SKIP_2) | instid1(VALU_DEP_4)
	v_sub_nc_u16 v20, v17, v20
	v_mad_co_u64_u32 v[17:18], null, v43, s6, v[1:2]
	v_and_b32_e32 v18, 0xffff, v19
	v_lshlrev_b64_e32 v[15:16], 2, v[15:16]
	s_delay_alu instid0(VALU_DEP_4) | instskip(SKIP_1) | instid1(VALU_DEP_4)
	v_and_b32_e32 v19, 0xff, v20
	v_lshlrev_b32_e32 v1, 2, v1
	v_add_nc_u32_e32 v44, v43, v18
	v_ashrrev_i32_e32 v18, 31, v17
	s_delay_alu instid0(VALU_DEP_4) | instskip(SKIP_1) | instid1(VALU_DEP_4)
	v_or_b32_e32 v25, 0x80, v19
	v_add_co_u32 v15, vcc_lo, s4, v15
	v_mad_co_u64_u32 v[20:21], null, v44, s6, v[2:3]
	v_and_b32_e32 v21, 0xffff, v22
	s_delay_alu instid0(VALU_DEP_4) | instskip(SKIP_2) | instid1(VALU_DEP_4)
	v_mul_lo_u16 v22, v25, 57
	v_lshlrev_b64_e32 v[17:18], 2, v[17:18]
	v_add_co_ci_u32_e64 v16, null, s5, v16, vcc_lo
	v_add_nc_u32_e32 v45, v44, v21
	s_delay_alu instid0(VALU_DEP_4) | instskip(SKIP_2) | instid1(VALU_DEP_4)
	v_lshrrev_b16 v46, 11, v22
	v_ashrrev_i32_e32 v21, 31, v20
	v_add_co_u32 v17, vcc_lo, s4, v17
	v_mad_co_u64_u32 v[22:23], null, v45, s6, v[3:4]
	v_and_b32_e32 v23, 0xffff, v24
	v_mul_lo_u16 v24, v46, 36
	v_lshlrev_b64_e32 v[20:21], 2, v[20:21]
	s_wait_alu 0xfffd
	v_add_co_ci_u32_e64 v18, null, s5, v18, vcc_lo
	v_add_nc_u32_e32 v47, v45, v23
	v_sub_nc_u16 v27, v25, v24
	v_ashrrev_i32_e32 v23, 31, v22
	v_add_co_u32 v20, vcc_lo, s4, v20
	s_delay_alu instid0(VALU_DEP_4)
	v_mad_co_u64_u32 v[24:25], null, v47, s6, v[4:5]
	v_and_b32_e32 v25, 0xffff, v26
	v_and_b32_e32 v26, 0xff, v27
	v_lshlrev_b64_e32 v[22:23], 2, v[22:23]
	s_wait_alu 0xfffd
	v_add_co_ci_u32_e64 v21, null, s5, v21, vcc_lo
	v_add_nc_u32_e32 v48, v47, v25
	v_or_b32_e32 v32, 0x80, v26
	v_ashrrev_i32_e32 v25, 31, v24
	v_add_co_u32 v22, vcc_lo, s4, v22
	s_delay_alu instid0(VALU_DEP_4)
	v_mad_co_u64_u32 v[27:28], null, v48, s6, v[5:6]
	v_and_b32_e32 v28, 0xffff, v29
	v_mul_lo_u16 v29, v32, 57
	v_lshlrev_b64_e32 v[24:25], 2, v[24:25]
	s_wait_alu 0xfffd
	v_add_co_ci_u32_e64 v23, null, s5, v23, vcc_lo
	v_add_nc_u32_e32 v49, v48, v28
	v_lshrrev_b16 v50, 11, v29
	v_ashrrev_i32_e32 v28, 31, v27
	v_add_co_u32 v24, vcc_lo, s4, v24
	s_delay_alu instid0(VALU_DEP_4)
	v_mad_co_u64_u32 v[29:30], null, v49, s6, v[6:7]
	v_and_b32_e32 v30, 0xffff, v31
	v_mul_lo_u16 v31, v50, 36
	v_lshlrev_b64_e32 v[27:28], 2, v[27:28]
	s_wait_alu 0xfffd
	v_add_co_ci_u32_e64 v25, null, s5, v25, vcc_lo
	v_add_nc_u32_e32 v51, v49, v30
	v_sub_nc_u16 v35, v32, v31
	v_ashrrev_i32_e32 v30, 31, v29
	v_add_co_u32 v27, vcc_lo, s4, v27
	s_delay_alu instid0(VALU_DEP_4) | instskip(NEXT) | instid1(VALU_DEP_4)
	v_add_nc_u32_e32 v52, v51, v36
	v_and_b32_e32 v33, 0xff, v35
	v_mad_co_u64_u32 v[31:32], null, v51, s6, v[7:8]
	v_lshlrev_b64_e32 v[29:30], 2, v[29:30]
	s_delay_alu instid0(VALU_DEP_4) | instskip(NEXT) | instid1(VALU_DEP_4)
	v_add_nc_u32_e32 v53, v52, v34
	v_or_b32_e32 v39, 0x80, v33
	s_wait_alu 0xfffd
	v_add_co_ci_u32_e64 v28, null, s5, v28, vcc_lo
	v_lshlrev_b32_e32 v2, 2, v2
	v_mad_co_u64_u32 v[36:37], null, v53, s6, v[9:10]
	v_mul_lo_u16 v35, v39, 57
	v_ashrrev_i32_e32 v32, 31, v31
	v_add_co_u32 v29, vcc_lo, s4, v29
	s_wait_alu 0xfffd
	v_add_co_ci_u32_e64 v30, null, s5, v30, vcc_lo
	v_lshrrev_b16 v54, 11, v35
	v_mad_co_u64_u32 v[34:35], null, v52, s6, v[8:9]
	v_and_b32_e32 v35, 0xffff, v38
	v_lshlrev_b64_e32 v[31:32], 2, v[31:32]
	s_delay_alu instid0(VALU_DEP_4)
	v_mul_lo_u16 v37, v54, 36
	v_lshlrev_b32_e32 v4, 2, v4
	v_lshlrev_b32_e32 v5, 2, v5
	v_add_nc_u32_e32 v55, v53, v35
	v_ashrrev_i32_e32 v35, 31, v34
	v_sub_nc_u16 v56, v39, v37
	v_add_co_u32 v31, vcc_lo, s4, v31
	s_delay_alu instid0(VALU_DEP_4) | instskip(SKIP_1) | instid1(VALU_DEP_4)
	v_mad_co_u64_u32 v[38:39], null, v55, s6, v[10:11]
	v_and_b32_e32 v39, 0xffff, v40
	v_and_b32_e32 v40, 0xff, v56
	s_wait_alu 0xfffd
	v_add_co_ci_u32_e64 v32, null, s5, v32, vcc_lo
	s_clause 0x7
	global_load_b32 v56, v[15:16], off
	global_load_b32 v57, v[17:18], off
	;; [unrolled: 1-line block ×8, first 2 shown]
	v_add_nc_u32_e32 v63, v55, v39
	v_or_b32_e32 v24, 0x80, v40
	v_ashrrev_i32_e32 v37, 31, v36
	v_ashrrev_i32_e32 v39, 31, v38
	v_lshlrev_b64_e32 v[15:16], 2, v[34:35]
	v_mad_co_u64_u32 v[20:21], null, v63, s6, v[11:12]
	v_mul_lo_u16 v21, v24, 57
	v_lshlrev_b64_e32 v[17:18], 2, v[36:37]
	v_lshlrev_b64_e32 v[22:23], 2, v[38:39]
	v_add_co_u32 v15, vcc_lo, s4, v15
	s_delay_alu instid0(VALU_DEP_4) | instskip(SKIP_4) | instid1(VALU_DEP_3)
	v_lshrrev_b16 v30, 11, v21
	v_ashrrev_i32_e32 v21, 31, v20
	s_wait_alu 0xfffd
	v_add_co_ci_u32_e64 v16, null, s5, v16, vcc_lo
	v_add_co_u32 v17, vcc_lo, s4, v17
	v_lshlrev_b64_e32 v[20:21], 2, v[20:21]
	s_wait_alu 0xfffd
	v_add_co_ci_u32_e64 v18, null, s5, v18, vcc_lo
	v_add_co_u32 v22, vcc_lo, s4, v22
	s_wait_alu 0xfffd
	v_add_co_ci_u32_e64 v23, null, s5, v23, vcc_lo
	v_add_co_u32 v20, vcc_lo, s4, v20
	s_wait_alu 0xfffd
	v_add_co_ci_u32_e64 v21, null, s5, v21, vcc_lo
	v_and_b32_e32 v25, 0xffff, v41
	v_and_b32_e32 v28, 0xffff, v42
	s_clause 0x3
	global_load_b32 v38, v[15:16], off
	global_load_b32 v39, v[17:18], off
	;; [unrolled: 1-line block ×4, first 2 shown]
	v_mul_lo_u16 v27, v30, 36
	v_lshlrev_b32_e32 v6, 2, v6
	v_add_nc_u32_e32 v36, v63, v25
	s_delay_alu instid0(VALU_DEP_3) | instskip(NEXT) | instid1(VALU_DEP_2)
	v_sub_nc_u16 v27, v24, v27
	v_mad_co_u64_u32 v[24:25], null, v36, s6, v[12:13]
	v_add_nc_u32_e32 v37, v36, v28
	s_delay_alu instid0(VALU_DEP_3) | instskip(SKIP_1) | instid1(VALU_DEP_3)
	v_and_b32_e32 v27, 0xff, v27
	v_mul_u32_u24_e32 v13, 0x90, v13
	v_mad_co_u64_u32 v[28:29], null, v37, s6, v[19:20]
	s_delay_alu instid0(VALU_DEP_3)
	v_or_b32_e32 v31, 0x80, v27
	v_ashrrev_i32_e32 v25, 31, v24
	v_and_b32_e32 v29, 0xffff, v46
	v_add3_u32 v13, 0, v13, v14
	v_mul_u32_u24_e32 v14, 0x90, v48
	v_mul_lo_u16 v34, v31, 57
	v_lshlrev_b64_e32 v[15:16], 2, v[24:25]
	v_add_nc_u32_e32 v46, v37, v29
	v_ashrrev_i32_e32 v29, 31, v28
	s_delay_alu instid0(VALU_DEP_4) | instskip(NEXT) | instid1(VALU_DEP_3)
	v_lshrrev_b16 v25, 11, v34
	v_mad_co_u64_u32 v[17:18], null, v46, s6, v[26:27]
	v_and_b32_e32 v18, 0xffff, v50
	s_delay_alu instid0(VALU_DEP_3)
	v_mul_lo_u16 v22, v25, 36
	v_lshlrev_b64_e32 v[20:21], 2, v[28:29]
	v_and_b32_e32 v28, 0xffff, v54
	v_and_b32_e32 v25, 0xffff, v25
	v_add_nc_u32_e32 v50, v46, v18
	v_sub_nc_u16 v24, v31, v22
	v_ashrrev_i32_e32 v18, 31, v17
	v_add_co_u32 v15, vcc_lo, s4, v15
	s_delay_alu instid0(VALU_DEP_4) | instskip(NEXT) | instid1(VALU_DEP_4)
	v_mad_co_u64_u32 v[22:23], null, v50, s6, v[33:34]
	v_and_b32_e32 v24, 0xff, v24
	v_add_nc_u32_e32 v54, v50, v28
	v_and_b32_e32 v28, 0xffff, v30
	v_lshlrev_b64_e32 v[17:18], 2, v[17:18]
	s_wait_alu 0xfffd
	v_add_co_ci_u32_e64 v16, null, s5, v16, vcc_lo
	v_or_b32_e32 v34, 0x80, v24
	v_add_nc_u32_e32 v64, v54, v28
	v_ashrrev_i32_e32 v23, 31, v22
	v_add_co_u32 v20, vcc_lo, s4, v20
	s_delay_alu instid0(VALU_DEP_4)
	v_mul_lo_u16 v29, v34, 57
	s_wait_alu 0xfffd
	v_add_co_ci_u32_e64 v21, null, s5, v21, vcc_lo
	v_lshlrev_b64_e32 v[22:23], 2, v[22:23]
	v_add_co_u32 v17, vcc_lo, s4, v17
	v_lshrrev_b16 v35, 11, v29
	v_add_nc_u32_e32 v65, v64, v25
	s_wait_alu 0xfffd
	v_add_co_ci_u32_e64 v18, null, s5, v18, vcc_lo
	v_add_co_u32 v22, vcc_lo, s4, v22
	v_and_b32_e32 v25, 0xffff, v35
	s_wait_alu 0xfffd
	v_add_co_ci_u32_e64 v23, null, s5, v23, vcc_lo
	s_delay_alu instid0(VALU_DEP_2) | instskip(SKIP_2) | instid1(VALU_DEP_1)
	v_add_nc_u32_e32 v67, v65, v25
	s_wait_loadcnt 0x1
	v_mad_co_u64_u32 v[28:29], null, v54, s6, v[40:41]
	v_mad_co_u64_u32 v[30:31], null, v64, s6, v[27:28]
	v_mul_lo_u16 v31, v35, 36
	v_ashrrev_i32_e32 v29, 31, v28
	s_delay_alu instid0(VALU_DEP_2) | instskip(SKIP_2) | instid1(VALU_DEP_3)
	v_sub_nc_u16 v66, v34, v31
	v_mad_co_u64_u32 v[34:35], null, v65, s6, v[24:25]
	v_ashrrev_i32_e32 v31, 31, v30
	v_and_b32_e32 v25, 0xff, v66
	s_clause 0x3
	global_load_b32 v66, v[15:16], off
	global_load_b32 v68, v[20:21], off
	;; [unrolled: 1-line block ×4, first 2 shown]
	v_lshlrev_b64_e32 v[15:16], 2, v[28:29]
	v_lshlrev_b64_e32 v[20:21], 2, v[30:31]
	v_ashrrev_i32_e32 v35, 31, v34
	v_mad_co_u64_u32 v[17:18], null, v67, s6, v[25:26]
	s_delay_alu instid0(VALU_DEP_4) | instskip(NEXT) | instid1(VALU_DEP_3)
	v_add_co_u32 v15, vcc_lo, s4, v15
	v_lshlrev_b64_e32 v[22:23], 2, v[34:35]
	s_wait_alu 0xfffd
	v_add_co_ci_u32_e64 v16, null, s5, v16, vcc_lo
	s_delay_alu instid0(VALU_DEP_4) | instskip(SKIP_3) | instid1(VALU_DEP_3)
	v_ashrrev_i32_e32 v18, 31, v17
	v_add_co_u32 v20, vcc_lo, s4, v20
	s_wait_alu 0xfffd
	v_add_co_ci_u32_e64 v21, null, s5, v21, vcc_lo
	v_lshlrev_b64_e32 v[17:18], 2, v[17:18]
	v_add_co_u32 v22, vcc_lo, s4, v22
	s_wait_alu 0xfffd
	v_add_co_ci_u32_e64 v23, null, s5, v23, vcc_lo
	s_delay_alu instid0(VALU_DEP_3)
	v_add_co_u32 v17, vcc_lo, s4, v17
	s_wait_alu 0xfffd
	v_add_co_ci_u32_e64 v18, null, s5, v18, vcc_lo
	s_clause 0x3
	global_load_b32 v15, v[15:16], off
	global_load_b32 v16, v[20:21], off
	;; [unrolled: 1-line block ×4, first 2 shown]
	v_mul_u32_u24_e32 v18, 0x90, v43
	v_mul_u32_u24_e32 v21, 0x90, v44
	s_delay_alu instid0(VALU_DEP_2) | instskip(NEXT) | instid1(VALU_DEP_2)
	v_add3_u32 v1, 0, v18, v1
	v_add3_u32 v2, 0, v21, v2
	ds_store_b32 v13, v56
	ds_store_b32 v1, v57
	ds_store_b32 v2, v58
	v_mul_u32_u24_e32 v1, 0x90, v45
	v_lshlrev_b32_e32 v2, 2, v3
	v_mul_u32_u24_e32 v3, 0x90, v47
	v_mul_lo_u32 v13, 0x90, v49
	s_delay_alu instid0(VALU_DEP_3) | instskip(NEXT) | instid1(VALU_DEP_3)
	v_add3_u32 v1, 0, v1, v2
	v_add3_u32 v2, 0, v3, v4
	v_mul_lo_u32 v3, 0x90, v51
	v_add3_u32 v4, 0, v14, v5
	v_add3_u32 v5, 0, v13, v6
	v_lshlrev_b32_e32 v6, 2, v7
	ds_store_b32 v1, v59
	ds_store_b32 v2, v60
	;; [unrolled: 1-line block ×4, first 2 shown]
	v_mul_lo_u32 v2, 0x90, v52
	v_mul_lo_u32 v4, 0x90, v53
	v_lshlrev_b32_e32 v5, 2, v9
	v_add3_u32 v1, 0, v3, v6
	v_lshlrev_b32_e32 v3, 2, v8
	v_mul_lo_u32 v6, 0x90, v55
	v_mul_lo_u32 v7, 0x90, v63
	v_lshlrev_b32_e32 v8, 2, v11
	ds_store_b32 v1, v32
	v_lshlrev_b32_e32 v1, 2, v10
	v_add3_u32 v2, 0, v2, v3
	v_add3_u32 v3, 0, v4, v5
	v_mul_lo_u32 v4, 0x90, v36
	v_lshlrev_b32_e32 v9, 2, v24
	v_add3_u32 v1, 0, v6, v1
	v_lshlrev_b32_e32 v6, 2, v12
	v_add3_u32 v5, 0, v7, v8
	ds_store_b32 v2, v38
	ds_store_b32 v3, v39
	;; [unrolled: 1-line block ×3, first 2 shown]
	s_wait_loadcnt 0x8
	ds_store_b32 v5, v42
	v_mul_lo_u32 v2, 0x90, v37
	v_add3_u32 v1, 0, v4, v6
	v_mul_lo_u32 v5, 0x90, v50
	v_mul_lo_u32 v3, 0x90, v46
	v_lshlrev_b32_e32 v4, 2, v19
	v_or_b32_e32 v7, 0x80, v25
	v_lshlrev_b32_e32 v6, 2, v26
	v_lshlrev_b32_e32 v8, 2, v27
	;; [unrolled: 1-line block ×3, first 2 shown]
	v_add3_u32 v2, 0, v2, v4
	v_mul_lo_u32 v4, 0x90, v54
	v_add3_u32 v3, 0, v3, v6
	v_lshlrev_b32_e32 v6, 2, v40
	s_wait_loadcnt 0x7
	ds_store_b32 v1, v66
	v_lshlrev_b32_e32 v1, 2, v33
	s_delay_alu instid0(VALU_DEP_1)
	v_add3_u32 v1, 0, v5, v1
	v_mul_lo_u16 v5, v7, 57
	s_wait_loadcnt 0x6
	ds_store_b32 v2, v68
	s_wait_loadcnt 0x5
	ds_store_b32 v3, v69
	;; [unrolled: 2-line block ×3, first 2 shown]
	v_add3_u32 v3, 0, v4, v6
	v_mul_lo_u32 v4, 0x90, v64
	v_lshrrev_b16 v1, 11, v5
	v_mul_lo_u32 v5, 0x90, v65
	v_mul_lo_u32 v6, 0x90, v67
	s_delay_alu instid0(VALU_DEP_3) | instskip(SKIP_3) | instid1(VALU_DEP_4)
	v_mul_lo_u16 v2, v1, 36
	v_and_b32_e32 v1, 0xffff, v1
	v_add3_u32 v4, 0, v4, v8
	v_add3_u32 v5, 0, v5, v9
	v_sub_nc_u16 v7, v7, v2
	s_delay_alu instid0(VALU_DEP_4)
	v_add_nc_u32_e32 v2, v67, v1
	v_add3_u32 v6, 0, v6, v10
	s_wait_loadcnt 0x3
	ds_store_b32 v3, v15
	s_wait_loadcnt 0x2
	ds_store_b32 v4, v16
	;; [unrolled: 2-line block ×4, first 2 shown]
	v_and_b32_e32 v1, 0xff, v7
	v_cmpx_gt_u32_e32 0x80, v2
	s_cbranch_execz .LBB5_2
; %bb.1:
	s_delay_alu instid0(VALU_DEP_2) | instskip(SKIP_1) | instid1(VALU_DEP_2)
	v_mad_co_u64_u32 v[3:4], null, v2, s6, v[1:2]
	v_lshlrev_b32_e32 v5, 2, v1
	v_ashrrev_i32_e32 v4, 31, v3
	s_delay_alu instid0(VALU_DEP_1) | instskip(NEXT) | instid1(VALU_DEP_1)
	v_lshlrev_b64_e32 v[3:4], 2, v[3:4]
	v_add_co_u32 v3, vcc_lo, s4, v3
	s_wait_alu 0xfffd
	s_delay_alu instid0(VALU_DEP_2) | instskip(SKIP_2) | instid1(VALU_DEP_1)
	v_add_co_ci_u32_e64 v4, null, s5, v4, vcc_lo
	global_load_b32 v3, v[3:4], off
	v_mul_lo_u32 v4, 0x90, v2
	v_add3_u32 v4, 0, v4, v5
	s_wait_loadcnt 0x0
	ds_store_b32 v4, v3
.LBB5_2:
	s_or_b32 exec_lo, exec_lo, s8
	s_delay_alu instid0(VALU_DEP_2) | instskip(SKIP_1) | instid1(VALU_DEP_1)
	v_or_b32_e32 v1, 0x80, v1
	s_mov_b32 s8, exec_lo
	v_mul_lo_u16 v3, v1, 57
	s_delay_alu instid0(VALU_DEP_1) | instskip(NEXT) | instid1(VALU_DEP_1)
	v_lshrrev_b16 v3, 11, v3
	v_mul_lo_u16 v4, v3, 36
	v_and_b32_e32 v3, 0xffff, v3
	s_delay_alu instid0(VALU_DEP_2) | instskip(NEXT) | instid1(VALU_DEP_2)
	v_sub_nc_u16 v1, v1, v4
	v_add_nc_u32_e32 v2, v2, v3
	s_delay_alu instid0(VALU_DEP_2) | instskip(NEXT) | instid1(VALU_DEP_2)
	v_and_b32_e32 v1, 0xff, v1
	v_cmpx_gt_u32_e32 0x80, v2
	s_cbranch_execz .LBB5_4
; %bb.3:
	s_delay_alu instid0(VALU_DEP_2) | instskip(SKIP_1) | instid1(VALU_DEP_2)
	v_mad_co_u64_u32 v[3:4], null, v2, s6, v[1:2]
	v_lshlrev_b32_e32 v5, 2, v1
	v_ashrrev_i32_e32 v4, 31, v3
	s_delay_alu instid0(VALU_DEP_1) | instskip(NEXT) | instid1(VALU_DEP_1)
	v_lshlrev_b64_e32 v[3:4], 2, v[3:4]
	v_add_co_u32 v3, vcc_lo, s4, v3
	s_wait_alu 0xfffd
	s_delay_alu instid0(VALU_DEP_2) | instskip(SKIP_2) | instid1(VALU_DEP_1)
	v_add_co_ci_u32_e64 v4, null, s5, v4, vcc_lo
	global_load_b32 v3, v[3:4], off
	v_mul_lo_u32 v4, 0x90, v2
	v_add3_u32 v4, 0, v4, v5
	s_wait_loadcnt 0x0
	ds_store_b32 v4, v3
.LBB5_4:
	s_or_b32 exec_lo, exec_lo, s8
	s_delay_alu instid0(VALU_DEP_2) | instskip(SKIP_1) | instid1(VALU_DEP_1)
	v_or_b32_e32 v1, 0x80, v1
	s_mov_b32 s8, exec_lo
	v_mul_lo_u16 v3, v1, 57
	s_delay_alu instid0(VALU_DEP_1) | instskip(NEXT) | instid1(VALU_DEP_1)
	v_lshrrev_b16 v3, 11, v3
	v_mul_lo_u16 v4, v3, 36
	v_and_b32_e32 v3, 0xffff, v3
	s_delay_alu instid0(VALU_DEP_2) | instskip(NEXT) | instid1(VALU_DEP_2)
	v_sub_nc_u16 v1, v1, v4
	v_add_nc_u32_e32 v2, v2, v3
	s_delay_alu instid0(VALU_DEP_2) | instskip(NEXT) | instid1(VALU_DEP_2)
	;; [unrolled: 33-line block ×8, first 2 shown]
	v_and_b32_e32 v1, 0xff, v1
	v_cmpx_gt_u32_e32 0x80, v2
	s_cbranch_execz .LBB5_18
; %bb.17:
	s_delay_alu instid0(VALU_DEP_2) | instskip(SKIP_1) | instid1(VALU_DEP_2)
	v_mad_co_u64_u32 v[3:4], null, v2, s6, v[1:2]
	v_lshlrev_b32_e32 v5, 2, v1
	v_ashrrev_i32_e32 v4, 31, v3
	s_delay_alu instid0(VALU_DEP_1) | instskip(NEXT) | instid1(VALU_DEP_1)
	v_lshlrev_b64_e32 v[3:4], 2, v[3:4]
	v_add_co_u32 v3, vcc_lo, s4, v3
	s_wait_alu 0xfffd
	s_delay_alu instid0(VALU_DEP_2) | instskip(SKIP_2) | instid1(VALU_DEP_1)
	v_add_co_ci_u32_e64 v4, null, s5, v4, vcc_lo
	global_load_b32 v3, v[3:4], off
	v_mul_lo_u32 v4, 0x90, v2
	v_add3_u32 v4, 0, v4, v5
	s_wait_loadcnt 0x0
	ds_store_b32 v4, v3
.LBB5_18:
	s_or_b32 exec_lo, exec_lo, s8
	s_delay_alu instid0(SALU_CYCLE_1)
	s_mov_b32 s8, exec_lo
	v_cmpx_gt_u32_e32 0x380, v0
	s_cbranch_execz .LBB5_39
; %bb.19:
	v_or_b32_e32 v1, 0x80, v1
	s_mov_b32 s9, exec_lo
	s_delay_alu instid0(VALU_DEP_1) | instskip(NEXT) | instid1(VALU_DEP_1)
	v_mul_lo_u16 v3, v1, 57
	v_lshrrev_b16 v3, 11, v3
	s_delay_alu instid0(VALU_DEP_1) | instskip(SKIP_1) | instid1(VALU_DEP_2)
	v_mul_lo_u16 v4, v3, 36
	v_and_b32_e32 v3, 0xffff, v3
	v_sub_nc_u16 v1, v1, v4
	s_delay_alu instid0(VALU_DEP_2) | instskip(NEXT) | instid1(VALU_DEP_2)
	v_add_nc_u32_e32 v2, v2, v3
	v_and_b32_e32 v1, 0xff, v1
	s_delay_alu instid0(VALU_DEP_2)
	v_cmpx_gt_u32_e32 0x80, v2
	s_cbranch_execz .LBB5_21
; %bb.20:
	s_delay_alu instid0(VALU_DEP_2) | instskip(SKIP_1) | instid1(VALU_DEP_2)
	v_mad_co_u64_u32 v[3:4], null, v2, s6, v[1:2]
	v_lshlrev_b32_e32 v5, 2, v1
	v_ashrrev_i32_e32 v4, 31, v3
	s_delay_alu instid0(VALU_DEP_1) | instskip(NEXT) | instid1(VALU_DEP_1)
	v_lshlrev_b64_e32 v[3:4], 2, v[3:4]
	v_add_co_u32 v3, vcc_lo, s4, v3
	s_wait_alu 0xfffd
	s_delay_alu instid0(VALU_DEP_2) | instskip(SKIP_2) | instid1(VALU_DEP_1)
	v_add_co_ci_u32_e64 v4, null, s5, v4, vcc_lo
	global_load_b32 v3, v[3:4], off
	v_mul_lo_u32 v4, 0x90, v2
	v_add3_u32 v4, 0, v4, v5
	s_wait_loadcnt 0x0
	ds_store_b32 v4, v3
.LBB5_21:
	s_or_b32 exec_lo, exec_lo, s9
	v_cmp_gt_u32_e32 vcc_lo, 0x300, v0
	s_and_b32 exec_lo, exec_lo, vcc_lo
	s_cbranch_execz .LBB5_39
; %bb.22:
	v_or_b32_e32 v1, 0x80, v1
	s_mov_b32 s9, exec_lo
	s_delay_alu instid0(VALU_DEP_1) | instskip(NEXT) | instid1(VALU_DEP_1)
	v_mul_lo_u16 v3, v1, 57
	v_lshrrev_b16 v3, 11, v3
	s_delay_alu instid0(VALU_DEP_1) | instskip(SKIP_1) | instid1(VALU_DEP_2)
	v_mul_lo_u16 v4, v3, 36
	v_and_b32_e32 v3, 0xffff, v3
	v_sub_nc_u16 v1, v1, v4
	s_delay_alu instid0(VALU_DEP_2) | instskip(NEXT) | instid1(VALU_DEP_2)
	v_add_nc_u32_e32 v2, v2, v3
	v_and_b32_e32 v1, 0xff, v1
	s_delay_alu instid0(VALU_DEP_2)
	v_cmpx_gt_u32_e32 0x80, v2
	s_cbranch_execz .LBB5_24
; %bb.23:
	s_delay_alu instid0(VALU_DEP_2) | instskip(SKIP_1) | instid1(VALU_DEP_2)
	v_mad_co_u64_u32 v[3:4], null, v2, s6, v[1:2]
	v_lshlrev_b32_e32 v5, 2, v1
	v_ashrrev_i32_e32 v4, 31, v3
	s_delay_alu instid0(VALU_DEP_1) | instskip(NEXT) | instid1(VALU_DEP_1)
	v_lshlrev_b64_e32 v[3:4], 2, v[3:4]
	v_add_co_u32 v3, vcc_lo, s4, v3
	s_wait_alu 0xfffd
	s_delay_alu instid0(VALU_DEP_2) | instskip(SKIP_2) | instid1(VALU_DEP_1)
	v_add_co_ci_u32_e64 v4, null, s5, v4, vcc_lo
	global_load_b32 v3, v[3:4], off
	v_mul_lo_u32 v4, 0x90, v2
	v_add3_u32 v4, 0, v4, v5
	s_wait_loadcnt 0x0
	ds_store_b32 v4, v3
.LBB5_24:
	s_or_b32 exec_lo, exec_lo, s9
	v_cmp_gt_u32_e32 vcc_lo, 0x280, v0
	s_and_b32 exec_lo, exec_lo, vcc_lo
	;; [unrolled: 37-line block ×6, first 2 shown]
	s_cbranch_execz .LBB5_39
; %bb.37:
	v_or_b32_e32 v3, 0x80, v1
	s_delay_alu instid0(VALU_DEP_1) | instskip(NEXT) | instid1(VALU_DEP_1)
	v_mul_lo_u16 v1, v3, 57
	v_lshrrev_b16 v4, 11, v1
	s_delay_alu instid0(VALU_DEP_1) | instskip(NEXT) | instid1(VALU_DEP_1)
	v_and_b32_e32 v1, 0xffff, v4
	v_add_nc_u32_e32 v1, v2, v1
	s_delay_alu instid0(VALU_DEP_1)
	v_cmp_gt_u32_e32 vcc_lo, 0x80, v1
	s_and_b32 exec_lo, exec_lo, vcc_lo
	s_cbranch_execz .LBB5_39
; %bb.38:
	v_mul_lo_u16 v2, v4, 36
	s_delay_alu instid0(VALU_DEP_1) | instskip(NEXT) | instid1(VALU_DEP_1)
	v_sub_nc_u16 v2, v3, v2
	v_and_b32_e32 v2, 0xff, v2
	s_delay_alu instid0(VALU_DEP_1) | instskip(SKIP_2) | instid1(VALU_DEP_3)
	v_mad_co_u64_u32 v[3:4], null, v1, s6, v[2:3]
	v_mul_lo_u32 v1, 0x90, v1
	v_lshlrev_b32_e32 v2, 2, v2
	v_ashrrev_i32_e32 v4, 31, v3
	s_delay_alu instid0(VALU_DEP_2) | instskip(NEXT) | instid1(VALU_DEP_2)
	v_add3_u32 v1, 0, v1, v2
	v_lshlrev_b64_e32 v[3:4], 2, v[3:4]
	s_delay_alu instid0(VALU_DEP_1) | instskip(SKIP_1) | instid1(VALU_DEP_2)
	v_add_co_u32 v3, vcc_lo, s4, v3
	s_wait_alu 0xfffd
	v_add_co_ci_u32_e64 v4, null, s5, v4, vcc_lo
	global_load_b32 v3, v[3:4], off
	s_wait_loadcnt 0x0
	ds_store_b32 v1, v3
.LBB5_39:
	s_or_b32 exec_lo, exec_lo, s8
	s_clause 0x1
	s_load_b128 s[8:11], s[0:1], 0x8
	s_load_b64 s[4:5], s[0:1], 0x28
	s_ashr_i32 s6, s7, 2
	s_ashr_i32 s15, s7, 31
	s_wait_alu 0xfffe
	v_mul_lo_u32 v1, s6, v0
	s_mov_b32 s14, s7
	s_wait_dscnt 0x0
	s_mul_u64 s[6:7], s[2:3], s[14:15]
	s_barrier_signal -1
	s_barrier_wait -1
	global_inv scope:SCOPE_SE
	v_lshlrev_b32_e32 v6, 2, v0
	v_ashrrev_i32_e32 v2, 31, v1
	s_delay_alu instid0(VALU_DEP_1)
	v_lshlrev_b64_e32 v[1:2], 2, v[1:2]
	s_wait_kmcnt 0x0
	s_wait_alu 0xfffe
	s_add_nc_u64 s[6:7], s[8:9], s[6:7]
	s_cmp_eq_u64 s[10:11], 0
	s_wait_alu 0xfffe
	v_add_co_u32 v1, vcc_lo, s6, v1
	s_wait_alu 0xfffd
	v_add_co_ci_u32_e64 v2, null, s7, v2, vcc_lo
	s_clause 0x1
	global_load_b32 v9, v[1:2], off offset:16
	global_load_b128 v[1:4], v[1:2], off
	s_cbranch_scc1 .LBB5_41
; %bb.40:
	s_lshl_b32 s6, s2, 2
	s_mov_b32 s7, 0
	s_wait_alu 0xfffe
	s_add_nc_u64 s[6:7], s[10:11], s[6:7]
	global_load_b32 v10, v6, s[6:7]
	s_branch .LBB5_42
.LBB5_41:
	v_mov_b32_e32 v10, 0
.LBB5_42:
	s_load_b64 s[6:7], s[0:1], 0x40
	s_wait_kmcnt 0x0
	s_sub_nc_u64 s[6:7], s[6:7], s[12:13]
	s_wait_alu 0xfffe
	v_cmp_lt_i64_e64 s8, s[6:7], 1
	s_and_b32 vcc_lo, exec_lo, s8
	s_wait_alu 0xfffe
	s_cbranch_vccnz .LBB5_45
; %bb.43:
	s_load_b96 s[8:10], s[0:1], 0x30
	v_mad_u32_u24 v0, 0x90, v0, 0
	v_cmp_lt_u64_e64 s16, s[6:7], 32
	ds_load_b32 v5, v0
	s_wait_kmcnt 0x0
	s_mul_i32 s0, s10, ttmp9
	s_ashr_i32 s11, s9, 31
	s_mov_b32 s10, s9
	s_ashr_i32 s1, s0, 31
	s_ashr_i32 s15, s8, 31
	s_mov_b32 s14, s8
	s_mul_u64 s[10:11], s[12:13], s[10:11]
	s_add_nc_u64 s[0:1], s[4:5], s[0:1]
	s_mul_u64 s[2:3], s[2:3], s[14:15]
	s_add_nc_u64 s[0:1], s[0:1], s[10:11]
	s_ashr_i32 s4, s9, 2
	s_add_nc_u64 s[0:1], s[0:1], s[2:3]
	s_wait_alu 0xfffe
	s_ashr_i32 s5, s4, 31
	v_add_co_u32 v7, s0, s0, v6
	s_wait_alu 0xf1ff
	v_add_co_ci_u32_e64 v8, null, s1, 0, s0
	s_and_b32 s0, s16, exec_lo
	s_cselect_b32 s1, s7, 0
	s_cselect_b32 s0, s6, 32
	s_wait_alu 0xfffe
	s_lshl_b64 s[2:3], s[4:5], 2
.LBB5_44:                               ; =>This Inner Loop Header: Depth=1
	s_wait_loadcnt_dscnt 0x0
	v_fma_f32 v13, v1, v5, 0
	ds_load_2addr_b32 v[5:6], v0 offset0:1 offset1:2
	ds_load_2addr_b32 v[11:12], v0 offset0:3 offset1:4
	s_add_nc_u64 s[0:1], s[0:1], -1
	v_add_nc_u32_e32 v0, 4, v0
	s_wait_alu 0xfffe
	s_cmp_lg_u64 s[0:1], 0
	s_wait_dscnt 0x1
	v_fmac_f32_e32 v13, v2, v5
	s_delay_alu instid0(VALU_DEP_1) | instskip(SKIP_1) | instid1(VALU_DEP_1)
	v_fmac_f32_e32 v13, v3, v6
	s_wait_dscnt 0x0
	v_fmac_f32_e32 v13, v4, v11
	s_delay_alu instid0(VALU_DEP_1) | instskip(NEXT) | instid1(VALU_DEP_1)
	v_fmac_f32_e32 v13, v9, v12
	v_add_f32_e32 v6, v10, v13
	s_delay_alu instid0(VALU_DEP_1) | instskip(NEXT) | instid1(VALU_DEP_1)
	v_mul_f32_e32 v11, 0xbfb8aa3b, v6
	v_fma_f32 v12, 0xbfb8aa3b, v6, -v11
	v_rndne_f32_e32 v13, v11
	s_delay_alu instid0(VALU_DEP_1) | instskip(NEXT) | instid1(VALU_DEP_1)
	v_dual_fmac_f32 v12, 0xb2a5705f, v6 :: v_dual_sub_f32 v11, v11, v13
	v_add_f32_e32 v11, v11, v12
	v_cvt_i32_f32_e32 v12, v13
	v_cmp_nlt_f32_e32 vcc_lo, 0x42ce8ed0, v6
	s_delay_alu instid0(VALU_DEP_3) | instskip(NEXT) | instid1(TRANS32_DEP_1)
	v_exp_f32_e32 v11, v11
	v_ldexp_f32 v11, v11, v12
	s_wait_alu 0xfffd
	s_delay_alu instid0(VALU_DEP_1) | instskip(SKIP_2) | instid1(VALU_DEP_2)
	v_cndmask_b32_e32 v11, 0, v11, vcc_lo
	v_cmp_ngt_f32_e32 vcc_lo, 0xc2b17218, v6
	s_wait_alu 0xfffd
	v_cndmask_b32_e32 v11, 0x7f800000, v11, vcc_lo
	s_delay_alu instid0(VALU_DEP_1) | instskip(NEXT) | instid1(VALU_DEP_1)
	v_add_f32_e32 v11, 1.0, v11
	v_div_scale_f32 v12, null, v11, v11, v6
	v_div_scale_f32 v14, vcc_lo, v6, v11, v6
	s_delay_alu instid0(VALU_DEP_2) | instskip(NEXT) | instid1(TRANS32_DEP_1)
	v_rcp_f32_e32 v13, v12
	v_fma_f32 v15, -v12, v13, 1.0
	s_delay_alu instid0(VALU_DEP_1) | instskip(NEXT) | instid1(VALU_DEP_1)
	v_fmac_f32_e32 v13, v15, v13
	v_mul_f32_e32 v15, v14, v13
	s_delay_alu instid0(VALU_DEP_1) | instskip(NEXT) | instid1(VALU_DEP_1)
	v_fma_f32 v16, -v12, v15, v14
	v_fmac_f32_e32 v15, v16, v13
	s_delay_alu instid0(VALU_DEP_1) | instskip(SKIP_1) | instid1(VALU_DEP_1)
	v_fma_f32 v12, -v12, v15, v14
	s_wait_alu 0xfffd
	v_div_fmas_f32 v12, v12, v13, v15
	s_delay_alu instid0(VALU_DEP_1)
	v_div_fixup_f32 v6, v12, v11, v6
	global_store_b32 v[7:8], v6, off
	v_add_co_u32 v7, vcc_lo, v7, s2
	s_wait_alu 0xfffd
	v_add_co_ci_u32_e64 v8, null, s3, v8, vcc_lo
	s_cbranch_scc1 .LBB5_44
.LBB5_45:
	s_endpgm
	.section	.rodata,"a",@progbits
	.p2align	6, 0x0
	.amdhsa_kernel _ZL23ssm_conv_long_token_f32ILb1ELm128ELm5ELl32EEvPKfS1_S1_iiiiPfiiil
		.amdhsa_group_segment_fixed_size 0
		.amdhsa_private_segment_fixed_size 0
		.amdhsa_kernarg_size 72
		.amdhsa_user_sgpr_count 2
		.amdhsa_user_sgpr_dispatch_ptr 0
		.amdhsa_user_sgpr_queue_ptr 0
		.amdhsa_user_sgpr_kernarg_segment_ptr 1
		.amdhsa_user_sgpr_dispatch_id 0
		.amdhsa_user_sgpr_private_segment_size 0
		.amdhsa_wavefront_size32 1
		.amdhsa_uses_dynamic_stack 0
		.amdhsa_enable_private_segment 0
		.amdhsa_system_sgpr_workgroup_id_x 1
		.amdhsa_system_sgpr_workgroup_id_y 1
		.amdhsa_system_sgpr_workgroup_id_z 1
		.amdhsa_system_sgpr_workgroup_info 0
		.amdhsa_system_vgpr_workitem_id 0
		.amdhsa_next_free_vgpr 71
		.amdhsa_next_free_sgpr 18
		.amdhsa_reserve_vcc 1
		.amdhsa_float_round_mode_32 0
		.amdhsa_float_round_mode_16_64 0
		.amdhsa_float_denorm_mode_32 3
		.amdhsa_float_denorm_mode_16_64 3
		.amdhsa_fp16_overflow 0
		.amdhsa_workgroup_processor_mode 1
		.amdhsa_memory_ordered 1
		.amdhsa_forward_progress 1
		.amdhsa_inst_pref_size 56
		.amdhsa_round_robin_scheduling 0
		.amdhsa_exception_fp_ieee_invalid_op 0
		.amdhsa_exception_fp_denorm_src 0
		.amdhsa_exception_fp_ieee_div_zero 0
		.amdhsa_exception_fp_ieee_overflow 0
		.amdhsa_exception_fp_ieee_underflow 0
		.amdhsa_exception_fp_ieee_inexact 0
		.amdhsa_exception_int_div_zero 0
	.end_amdhsa_kernel
	.section	.text._ZL23ssm_conv_long_token_f32ILb1ELm128ELm5ELl32EEvPKfS1_S1_iiiiPfiiil,"axG",@progbits,_ZL23ssm_conv_long_token_f32ILb1ELm128ELm5ELl32EEvPKfS1_S1_iiiiPfiiil,comdat
.Lfunc_end5:
	.size	_ZL23ssm_conv_long_token_f32ILb1ELm128ELm5ELl32EEvPKfS1_S1_iiiiPfiiil, .Lfunc_end5-_ZL23ssm_conv_long_token_f32ILb1ELm128ELm5ELl32EEvPKfS1_S1_iiiiPfiiil
                                        ; -- End function
	.set _ZL23ssm_conv_long_token_f32ILb1ELm128ELm5ELl32EEvPKfS1_S1_iiiiPfiiil.num_vgpr, 71
	.set _ZL23ssm_conv_long_token_f32ILb1ELm128ELm5ELl32EEvPKfS1_S1_iiiiPfiiil.num_agpr, 0
	.set _ZL23ssm_conv_long_token_f32ILb1ELm128ELm5ELl32EEvPKfS1_S1_iiiiPfiiil.numbered_sgpr, 18
	.set _ZL23ssm_conv_long_token_f32ILb1ELm128ELm5ELl32EEvPKfS1_S1_iiiiPfiiil.num_named_barrier, 0
	.set _ZL23ssm_conv_long_token_f32ILb1ELm128ELm5ELl32EEvPKfS1_S1_iiiiPfiiil.private_seg_size, 0
	.set _ZL23ssm_conv_long_token_f32ILb1ELm128ELm5ELl32EEvPKfS1_S1_iiiiPfiiil.uses_vcc, 1
	.set _ZL23ssm_conv_long_token_f32ILb1ELm128ELm5ELl32EEvPKfS1_S1_iiiiPfiiil.uses_flat_scratch, 0
	.set _ZL23ssm_conv_long_token_f32ILb1ELm128ELm5ELl32EEvPKfS1_S1_iiiiPfiiil.has_dyn_sized_stack, 0
	.set _ZL23ssm_conv_long_token_f32ILb1ELm128ELm5ELl32EEvPKfS1_S1_iiiiPfiiil.has_recursion, 0
	.set _ZL23ssm_conv_long_token_f32ILb1ELm128ELm5ELl32EEvPKfS1_S1_iiiiPfiiil.has_indirect_call, 0
	.section	.AMDGPU.csdata,"",@progbits
; Kernel info:
; codeLenInByte = 7056
; TotalNumSgprs: 20
; NumVgprs: 71
; ScratchSize: 0
; MemoryBound: 0
; FloatMode: 240
; IeeeMode: 1
; LDSByteSize: 0 bytes/workgroup (compile time only)
; SGPRBlocks: 0
; VGPRBlocks: 8
; NumSGPRsForWavesPerEU: 20
; NumVGPRsForWavesPerEU: 71
; Occupancy: 16
; WaveLimiterHint : 0
; COMPUTE_PGM_RSRC2:SCRATCH_EN: 0
; COMPUTE_PGM_RSRC2:USER_SGPR: 2
; COMPUTE_PGM_RSRC2:TRAP_HANDLER: 0
; COMPUTE_PGM_RSRC2:TGID_X_EN: 1
; COMPUTE_PGM_RSRC2:TGID_Y_EN: 1
; COMPUTE_PGM_RSRC2:TGID_Z_EN: 1
; COMPUTE_PGM_RSRC2:TIDIG_COMP_CNT: 0
	.section	.text._ZL12ssm_conv_f32ILb1ELm128ELm9EEvPKfS1_S1_iiiiPfiiil,"axG",@progbits,_ZL12ssm_conv_f32ILb1ELm128ELm9EEvPKfS1_S1_iiiiPfiiil,comdat
	.globl	_ZL12ssm_conv_f32ILb1ELm128ELm9EEvPKfS1_S1_iiiiPfiiil ; -- Begin function _ZL12ssm_conv_f32ILb1ELm128ELm9EEvPKfS1_S1_iiiiPfiiil
	.p2align	8
	.type	_ZL12ssm_conv_f32ILb1ELm128ELm9EEvPKfS1_S1_iiiiPfiiil,@function
_ZL12ssm_conv_f32ILb1ELm128ELm9EEvPKfS1_S1_iiiiPfiiil: ; @_ZL12ssm_conv_f32ILb1ELm128ELm9EEvPKfS1_S1_iiiiPfiiil
; %bb.0:
	s_load_b64 s[2:3], s[0:1], 0x10
	s_mov_b32 s4, ttmp7
	s_ashr_i32 s5, ttmp7, 31
	v_lshlrev_b32_e32 v19, 2, v0
	s_lshl_b64 s[12:13], s[4:5], 7
	s_wait_kmcnt 0x0
	s_cmp_eq_u64 s[2:3], 0
	s_cbranch_scc1 .LBB6_2
; %bb.1:
	s_lshl_b64 s[4:5], s[12:13], 2
	s_delay_alu instid0(SALU_CYCLE_1)
	s_add_nc_u64 s[2:3], s[2:3], s[4:5]
	global_load_b32 v21, v19, s[2:3]
	s_load_b64 s[2:3], s[0:1], 0x40
	s_wait_kmcnt 0x0
	v_cmp_lt_i64_e64 s4, s[2:3], 1
	s_and_b32 vcc_lo, exec_lo, s4
	s_cbranch_vccz .LBB6_3
	s_branch .LBB6_6
.LBB6_2:
	v_mov_b32_e32 v21, 0
	s_load_b64 s[2:3], s[0:1], 0x40
	s_wait_kmcnt 0x0
	v_cmp_lt_i64_e64 s4, s[2:3], 1
	s_and_b32 vcc_lo, exec_lo, s4
	s_cbranch_vccnz .LBB6_6
.LBB6_3:
	s_clause 0x1
	s_load_b96 s[8:10], s[0:1], 0x1c
	s_load_b128 s[4:7], s[0:1], 0x0
	s_wait_kmcnt 0x0
	s_ashr_i32 s11, s8, 2
	s_ashr_i32 s14, s10, 2
	v_mul_lo_u32 v1, s11, v0
	v_mul_lo_u32 v3, s14, v0
	s_mul_i32 s14, s9, ttmp9
	s_ashr_i32 s9, s8, 31
	s_wait_alu 0xfffe
	s_ashr_i32 s15, s14, 31
	s_ashr_i32 s11, s10, 31
	s_mul_u64 s[8:9], s[12:13], s[8:9]
	s_wait_alu 0xfffe
	s_add_nc_u64 s[4:5], s[4:5], s[14:15]
	v_ashrrev_i32_e32 v2, 31, v1
	v_ashrrev_i32_e32 v4, 31, v3
	s_mul_u64 s[10:11], s[12:13], s[10:11]
	s_add_nc_u64 s[4:5], s[4:5], s[8:9]
	s_wait_alu 0xfffe
	s_add_nc_u64 s[6:7], s[6:7], s[10:11]
	v_lshlrev_b64_e32 v[0:1], 2, v[1:2]
	v_lshlrev_b64_e32 v[2:3], 2, v[3:4]
	s_delay_alu instid0(VALU_DEP_2) | instskip(NEXT) | instid1(VALU_DEP_1)
	v_add_co_u32 v17, vcc_lo, s4, v0
	v_add_co_ci_u32_e64 v18, null, s5, v1, vcc_lo
	s_delay_alu instid0(VALU_DEP_3) | instskip(SKIP_1) | instid1(VALU_DEP_4)
	v_add_co_u32 v22, vcc_lo, s6, v2
	s_wait_alu 0xfffd
	v_add_co_ci_u32_e64 v23, null, s7, v3, vcc_lo
	global_load_b128 v[0:3], v[17:18], off
	s_clause 0x1
	global_load_b128 v[9:12], v[22:23], off
	global_load_b128 v[13:16], v[22:23], off offset:16
	global_load_b128 v[4:7], v[17:18], off offset:16
	global_load_b32 v22, v[22:23], off offset:32
	global_load_b32 v8, v[17:18], off offset:32
	s_clause 0x1
	s_load_b96 s[4:6], s[0:1], 0x30
	s_load_b64 s[0:1], s[0:1], 0x28
	s_wait_kmcnt 0x0
	s_mul_i32 s6, s6, ttmp9
	s_ashr_i32 s9, s4, 31
	s_wait_alu 0xfffe
	s_ashr_i32 s7, s6, 31
	s_mov_b32 s8, s4
	s_wait_alu 0xfffe
	s_add_nc_u64 s[6:7], s[0:1], s[6:7]
	s_mul_u64 s[8:9], s[12:13], s[8:9]
	s_cmp_eq_u64 s[2:3], 1
	s_wait_alu 0xfffe
	s_add_nc_u64 s[0:1], s[6:7], s[8:9]
	s_wait_loadcnt 0x4
	v_fma_f32 v20, v9, v0, 0
	s_delay_alu instid0(VALU_DEP_1) | instskip(NEXT) | instid1(VALU_DEP_1)
	v_fmac_f32_e32 v20, v10, v1
	v_fmac_f32_e32 v20, v11, v2
	s_delay_alu instid0(VALU_DEP_1) | instskip(SKIP_1) | instid1(VALU_DEP_1)
	v_fmac_f32_e32 v20, v12, v3
	s_wait_loadcnt 0x2
	v_fmac_f32_e32 v20, v13, v4
	s_delay_alu instid0(VALU_DEP_1) | instskip(NEXT) | instid1(VALU_DEP_1)
	v_fmac_f32_e32 v20, v14, v5
	v_fmac_f32_e32 v20, v15, v6
	s_delay_alu instid0(VALU_DEP_1) | instskip(SKIP_1) | instid1(VALU_DEP_1)
	v_fmac_f32_e32 v20, v16, v7
	s_wait_loadcnt 0x0
	v_fmac_f32_e32 v20, v22, v8
	s_delay_alu instid0(VALU_DEP_1) | instskip(NEXT) | instid1(VALU_DEP_1)
	v_add_f32_e32 v20, v21, v20
	v_mul_f32_e32 v23, 0xbfb8aa3b, v20
	v_cmp_nlt_f32_e32 vcc_lo, 0x42ce8ed0, v20
	s_delay_alu instid0(VALU_DEP_2) | instskip(SKIP_1) | instid1(VALU_DEP_1)
	v_fma_f32 v24, 0xbfb8aa3b, v20, -v23
	v_rndne_f32_e32 v25, v23
	v_dual_fmac_f32 v24, 0xb2a5705f, v20 :: v_dual_sub_f32 v23, v23, v25
	s_delay_alu instid0(VALU_DEP_1) | instskip(SKIP_1) | instid1(VALU_DEP_2)
	v_add_f32_e32 v23, v23, v24
	v_cvt_i32_f32_e32 v24, v25
	v_exp_f32_e32 v23, v23
	s_delay_alu instid0(TRANS32_DEP_1) | instskip(SKIP_1) | instid1(VALU_DEP_1)
	v_ldexp_f32 v23, v23, v24
	s_wait_alu 0xfffd
	v_cndmask_b32_e32 v23, 0, v23, vcc_lo
	v_cmp_ngt_f32_e32 vcc_lo, 0xc2b17218, v20
	s_wait_alu 0xfffd
	s_delay_alu instid0(VALU_DEP_2) | instskip(NEXT) | instid1(VALU_DEP_1)
	v_cndmask_b32_e32 v23, 0x7f800000, v23, vcc_lo
	v_add_f32_e32 v23, 1.0, v23
	s_delay_alu instid0(VALU_DEP_1) | instskip(NEXT) | instid1(VALU_DEP_1)
	v_div_scale_f32 v24, null, v23, v23, v20
	v_rcp_f32_e32 v25, v24
	s_delay_alu instid0(TRANS32_DEP_1) | instskip(NEXT) | instid1(VALU_DEP_1)
	v_fma_f32 v26, -v24, v25, 1.0
	v_fmac_f32_e32 v25, v26, v25
	v_div_scale_f32 v26, vcc_lo, v20, v23, v20
	s_delay_alu instid0(VALU_DEP_1) | instskip(NEXT) | instid1(VALU_DEP_1)
	v_mul_f32_e32 v27, v26, v25
	v_fma_f32 v28, -v24, v27, v26
	s_delay_alu instid0(VALU_DEP_1) | instskip(NEXT) | instid1(VALU_DEP_1)
	v_fmac_f32_e32 v27, v28, v25
	v_fma_f32 v24, -v24, v27, v26
	s_wait_alu 0xfffd
	s_delay_alu instid0(VALU_DEP_1) | instskip(NEXT) | instid1(VALU_DEP_1)
	v_div_fmas_f32 v24, v24, v25, v27
	v_div_fixup_f32 v20, v24, v23, v20
	global_store_b32 v19, v20, s[0:1]
	s_cbranch_scc1 .LBB6_6
; %bb.4:
	s_ashr_i32 s0, s5, 2
	v_add_co_u32 v17, vcc_lo, v17, 36
	s_ashr_i32 s1, s0, 31
	s_wait_alu 0xfffd
	v_add_co_ci_u32_e64 v18, null, 0, v18, vcc_lo
	s_lshl_b64 s[0:1], s[0:1], 2
	s_add_nc_u64 s[2:3], s[2:3], -1
	s_add_nc_u64 s[4:5], s[8:9], s[0:1]
	s_mov_b64 s[8:9], 9
	s_wait_alu 0xfffe
	s_add_nc_u64 s[4:5], s[6:7], s[4:5]
	s_mov_b64 s[6:7], 0
	s_wait_alu 0xfffe
	v_add_co_u32 v19, s4, s4, v19
	s_wait_alu 0xf1ff
	v_add_co_ci_u32_e64 v20, null, s5, 0, s4
	s_mov_b64 s[4:5], 1
	s_mov_b64 s[10:11], 8
	s_mov_b64 s[12:13], 7
	s_mov_b64 s[14:15], 6
	s_mov_b64 s[16:17], 5
	s_mov_b64 s[18:19], 0x8e38e38f
	s_mov_b64 s[20:21], 0xe38e38e3
	s_mov_b64 s[22:23], 4
	s_mov_b64 s[24:25], 3
	s_mov_b64 s[26:27], 2
	s_mov_b32 s29, 0
.LBB6_5:                                ; =>This Inner Loop Header: Depth=1
	global_load_b32 v23, v[17:18], off
	s_wait_alu 0xfffe
	s_mov_b32 s84, s4
	s_mov_b32 s85, s29
	;; [unrolled: 1-line block ×8, first 2 shown]
	s_mul_u64 s[96:97], s[84:85], s[18:19]
	s_mov_b32 s60, s14
	s_mov_b32 s61, s29
	;; [unrolled: 1-line block ×6, first 2 shown]
	s_mul_u64 s[98:99], s[86:87], s[18:19]
	s_mul_u64 s[100:101], s[80:81], s[18:19]
	s_mov_b32 s90, s97
	s_mul_u64 s[96:97], s[72:73], s[18:19]
	s_mov_b32 s28, s5
	s_mov_b32 s78, s24
	;; [unrolled: 1-line block ×4, first 2 shown]
	s_mul_u64 s[98:99], s[60:61], s[18:19]
	s_mov_b32 s94, s101
	s_mul_u64 s[100:101], s[66:67], s[18:19]
	s_mov_b32 s88, s97
	;; [unrolled: 2-line block ×3, first 2 shown]
	s_mov_b32 s82, s99
	s_mul_u64 s[98:99], s[78:79], s[18:19]
	s_mov_b32 s76, s101
	s_mul_u64 s[100:101], s[28:29], s[18:19]
	;; [unrolled: 2-line block ×3, first 2 shown]
	s_mov_b32 s28, s9
	s_mov_b32 s93, s29
	;; [unrolled: 1-line block ×3, first 2 shown]
	s_mul_u64 s[98:99], s[28:29], s[18:19]
	s_add_nc_u64 s[90:91], s[100:101], s[90:91]
	s_mul_u64 s[100:101], s[28:29], s[20:21]
	s_mov_b32 s28, s11
	s_mov_b32 s95, s29
	s_add_nc_u64 s[92:93], s[98:99], s[92:93]
	s_mul_u64 s[98:99], s[28:29], s[18:19]
	s_mul_u64 s[84:85], s[84:85], s[20:21]
	s_mov_b32 s62, s91
	s_mov_b32 s91, s29
	s_add_nc_u64 s[94:95], s[98:99], s[94:95]
	s_mul_u64 s[86:87], s[86:87], s[20:21]
	s_add_nc_u64 s[84:85], s[84:85], s[90:91]
	s_mul_u64 s[90:91], s[28:29], s[20:21]
	s_mov_b32 s28, s13
	s_mov_b32 s68, s93
	;; [unrolled: 1-line block ×4, first 2 shown]
	s_add_nc_u64 s[86:87], s[86:87], s[92:93]
	s_mul_u64 s[92:93], s[28:29], s[18:19]
	s_mul_u64 s[80:81], s[80:81], s[20:21]
	s_mov_b32 s54, s95
	s_mov_b32 s95, s29
	;; [unrolled: 1-line block ×4, first 2 shown]
	s_add_nc_u64 s[88:89], s[92:93], s[88:89]
	s_mov_b32 s70, s87
	s_mul_u64 s[86:87], s[28:29], s[20:21]
	s_mov_b32 s28, s15
	s_add_nc_u64 s[80:81], s[80:81], s[94:95]
	s_mov_b32 s83, s29
	s_mul_u64 s[94:95], s[28:29], s[18:19]
	s_add_nc_u64 s[68:69], s[68:69], s[70:71]
	s_mul_u64 s[72:73], s[72:73], s[20:21]
	s_mov_b32 s56, s81
	s_mul_u64 s[80:81], s[28:29], s[20:21]
	s_mov_b32 s28, s17
	s_mov_b32 s48, s89
	;; [unrolled: 1-line block ×6, first 2 shown]
	s_add_nc_u64 s[82:83], s[94:95], s[82:83]
	s_add_nc_u64 s[72:73], s[72:73], s[88:89]
	s_mul_u64 s[88:89], s[28:29], s[18:19]
	s_add_nc_u64 s[68:69], s[100:101], s[68:69]
	s_mul_u64 s[100:101], s[28:29], s[20:21]
	s_mov_b32 s28, s23
	s_mov_b32 s63, s29
	;; [unrolled: 1-line block ×7, first 2 shown]
	s_add_nc_u64 s[76:77], s[88:89], s[76:77]
	s_mul_u64 s[60:61], s[60:61], s[20:21]
	s_add_nc_u64 s[54:55], s[54:55], s[56:57]
	s_mul_u64 s[56:57], s[28:29], s[18:19]
	s_mov_b32 s50, s73
	s_mul_u64 s[72:73], s[28:29], s[20:21]
	s_mov_b32 s28, s25
	s_mov_b32 s44, s83
	;; [unrolled: 1-line block ×6, first 2 shown]
	s_mul_u64 s[92:93], s[98:99], s[18:19]
	s_add_nc_u64 s[62:63], s[62:63], s[64:65]
	s_mov_b32 s64, s6
	s_mul_u64 s[66:67], s[66:67], s[20:21]
	s_add_nc_u64 s[60:61], s[60:61], s[82:83]
	s_mul_u64 s[82:83], s[28:29], s[18:19]
	s_add_nc_u64 s[56:57], s[56:57], s[58:59]
	s_mul_u64 s[58:59], s[28:29], s[20:21]
	s_mov_b32 s28, s27
	s_mov_b32 s40, s77
	;; [unrolled: 1-line block ×7, first 2 shown]
	s_mul_u64 s[70:71], s[64:65], s[18:19]
	s_mul_u64 s[74:75], s[74:75], s[20:21]
	s_add_nc_u64 s[54:55], s[90:91], s[54:55]
	s_mul_u64 s[90:91], s[28:29], s[18:19]
	s_add_nc_u64 s[48:49], s[48:49], s[50:51]
	s_mul_u64 s[50:51], s[28:29], s[20:21]
	s_mov_b32 s28, s7
	s_mov_b32 s46, s61
	s_add_nc_u64 s[66:67], s[66:67], s[76:77]
	s_mov_b32 s36, s57
	s_mov_b32 s57, s29
	s_add_nc_u64 s[52:53], s[82:83], s[52:53]
	s_mov_b32 s41, s29
	s_mov_b32 s43, s29
	;; [unrolled: 1-line block ×4, first 2 shown]
	s_mul_u64 s[78:79], s[78:79], s[20:21]
	s_mul_u64 s[60:61], s[28:29], s[18:19]
	s_add_nc_u64 s[44:45], s[44:45], s[46:47]
	s_mov_b32 s42, s67
	s_add_nc_u64 s[46:47], s[74:75], s[56:57]
	s_mov_b32 s30, s53
	s_mov_b32 s53, s29
	s_add_nc_u64 s[56:57], s[90:91], s[92:93]
	s_mov_b32 s37, s29
	s_mov_b32 s39, s29
	s_mul_u64 s[98:99], s[98:99], s[20:21]
	s_add_nc_u64 s[40:41], s[40:41], s[42:43]
	s_mov_b32 s38, s47
	s_add_nc_u64 s[42:43], s[78:79], s[52:53]
	s_mov_b32 s84, s57
	s_mov_b32 s57, s29
	s_add_nc_u64 s[46:47], s[60:61], s[70:71]
	s_mov_b32 s31, s29
	s_mov_b32 s35, s29
	s_mul_u64 s[64:65], s[64:65], s[20:21]
	s_add_nc_u64 s[48:49], s[86:87], s[48:49]
	s_add_nc_u64 s[44:45], s[80:81], s[44:45]
	;; [unrolled: 1-line block ×3, first 2 shown]
	s_mov_b32 s34, s43
	s_add_nc_u64 s[38:39], s[98:99], s[56:57]
	s_mov_b32 s88, s47
	s_mov_b32 s47, s29
	;; [unrolled: 1-line block ×4, first 2 shown]
	s_lshr_b64 s[48:49], s[48:49], 3
	s_lshr_b64 s[44:45], s[44:45], 3
	s_add_nc_u64 s[36:37], s[72:73], s[36:37]
	s_add_nc_u64 s[30:31], s[30:31], s[34:35]
	s_mov_b32 s94, s39
	s_add_nc_u64 s[34:35], s[64:65], s[46:47]
	s_add_nc_u64 s[40:41], s[100:101], s[40:41]
	s_mov_b32 s89, s29
	s_add_nc_u64 s[62:63], s[96:97], s[62:63]
	s_mov_b32 s97, s29
	s_mul_i32 s42, s48, 9
	s_mul_i32 s44, s44, 9
	s_lshr_b64 s[36:37], s[36:37], 3
	s_add_nc_u64 s[30:31], s[58:59], s[30:31]
	s_add_nc_u64 s[38:39], s[84:85], s[94:95]
	s_mov_b32 s96, s35
	s_lshr_b64 s[40:41], s[40:41], 3
	s_mul_u64 s[76:77], s[28:29], s[20:21]
	s_sub_co_i32 s41, s6, s42
	s_sub_co_i32 s42, s6, s44
	s_mul_i32 s44, s36, 9
	s_lshr_b64 s[30:31], s[30:31], 3
	s_add_nc_u64 s[34:35], s[50:51], s[38:39]
	s_add_nc_u64 s[36:37], s[88:89], s[96:97]
	s_mul_i32 s39, s30, 9
	s_lshr_b64 s[30:31], s[34:35], 3
	s_add_nc_u64 s[34:35], s[76:77], s[36:37]
	s_lshr_b64 s[62:63], s[62:63], 3
	s_mul_i32 s37, s30, 9
	s_lshr_b64 s[30:31], s[34:35], 3
	s_mul_i32 s28, s62, 9
	s_mul_i32 s30, s30, -9
	s_sub_co_i32 s28, s6, s28
	s_add_co_i32 m0, s6, s30
	s_sub_co_i32 s34, s6, s37
	s_sub_co_i32 s31, s6, s39
	s_sub_co_i32 s36, s6, s44
	s_mul_i32 s40, s40, 9
	s_lshr_b64 s[54:55], s[54:55], 3
	s_sub_co_i32 s38, s6, s40
	s_mul_i32 s54, s54, 9
	s_lshr_b64 s[68:69], s[68:69], 3
	s_sub_co_i32 s43, s6, s54
	s_mul_i32 s33, s68, 9
	v_add_co_u32 v17, vcc_lo, v17, 4
	s_sub_co_i32 s33, s6, s33
	s_wait_alu 0xfffd
	v_add_co_ci_u32_e64 v18, null, 0, v18, vcc_lo
	s_add_nc_u64 s[6:7], s[6:7], 1
	s_add_nc_u64 s[4:5], s[4:5], 1
	;; [unrolled: 1-line block ×10, first 2 shown]
	s_wait_loadcnt 0x0
	v_movreld_b32_e32 v0, v23
	s_add_co_i32 m0, s28, 1
	v_movrels_b32_e32 v23, v0
	s_add_co_i32 m0, s34, 2
	v_movrels_b32_e32 v24, v0
	s_add_co_i32 m0, s31, 3
	s_delay_alu instid0(VALU_DEP_2) | instskip(SKIP_3) | instid1(VALU_DEP_3)
	v_fma_f32 v23, v9, v23, 0
	v_movrels_b32_e32 v25, v0
	s_add_co_i32 m0, s36, 4
	v_movrels_b32_e32 v26, v0
	v_fmac_f32_e32 v23, v10, v24
	s_add_co_i32 m0, s38, 5
	v_movrels_b32_e32 v27, v0
	s_add_co_i32 m0, s42, 6
	s_delay_alu instid0(VALU_DEP_2) | instskip(SKIP_3) | instid1(VALU_DEP_3)
	v_fmac_f32_e32 v23, v11, v25
	v_movrels_b32_e32 v28, v0
	s_add_co_i32 m0, s41, 7
	v_movrels_b32_e32 v24, v0
	v_fmac_f32_e32 v23, v12, v26
	s_add_co_i32 m0, s43, 8
	v_movrels_b32_e32 v29, v0
	s_add_co_i32 m0, s33, 9
	s_delay_alu instid0(VALU_DEP_2) | instskip(SKIP_3) | instid1(VALU_DEP_2)
	v_fmac_f32_e32 v23, v13, v27
	v_movrels_b32_e32 v25, v0
	s_wait_alu 0xfffe
	s_cmp_eq_u64 s[2:3], s[6:7]
	v_fmac_f32_e32 v23, v14, v28
	s_delay_alu instid0(VALU_DEP_1) | instskip(NEXT) | instid1(VALU_DEP_1)
	v_fmac_f32_e32 v23, v15, v24
	v_fmac_f32_e32 v23, v16, v29
	s_delay_alu instid0(VALU_DEP_1) | instskip(NEXT) | instid1(VALU_DEP_1)
	v_fmac_f32_e32 v23, v22, v25
	v_add_f32_e32 v23, v21, v23
	s_delay_alu instid0(VALU_DEP_1) | instskip(SKIP_1) | instid1(VALU_DEP_2)
	v_mul_f32_e32 v24, 0xbfb8aa3b, v23
	v_cmp_nlt_f32_e32 vcc_lo, 0x42ce8ed0, v23
	v_fma_f32 v25, 0xbfb8aa3b, v23, -v24
	v_rndne_f32_e32 v26, v24
	s_delay_alu instid0(VALU_DEP_1) | instskip(NEXT) | instid1(VALU_DEP_1)
	v_dual_fmac_f32 v25, 0xb2a5705f, v23 :: v_dual_sub_f32 v24, v24, v26
	v_add_f32_e32 v24, v24, v25
	v_cvt_i32_f32_e32 v25, v26
	s_delay_alu instid0(VALU_DEP_2) | instskip(NEXT) | instid1(TRANS32_DEP_1)
	v_exp_f32_e32 v24, v24
	v_ldexp_f32 v24, v24, v25
	s_wait_alu 0xfffd
	s_delay_alu instid0(VALU_DEP_1) | instskip(SKIP_2) | instid1(VALU_DEP_2)
	v_cndmask_b32_e32 v24, 0, v24, vcc_lo
	v_cmp_ngt_f32_e32 vcc_lo, 0xc2b17218, v23
	s_wait_alu 0xfffd
	v_cndmask_b32_e32 v24, 0x7f800000, v24, vcc_lo
	s_delay_alu instid0(VALU_DEP_1) | instskip(NEXT) | instid1(VALU_DEP_1)
	v_add_f32_e32 v24, 1.0, v24
	v_div_scale_f32 v25, null, v24, v24, v23
	v_div_scale_f32 v27, vcc_lo, v23, v24, v23
	s_delay_alu instid0(VALU_DEP_2) | instskip(NEXT) | instid1(TRANS32_DEP_1)
	v_rcp_f32_e32 v26, v25
	v_fma_f32 v28, -v25, v26, 1.0
	s_delay_alu instid0(VALU_DEP_1) | instskip(NEXT) | instid1(VALU_DEP_1)
	v_fmac_f32_e32 v26, v28, v26
	v_mul_f32_e32 v28, v27, v26
	s_delay_alu instid0(VALU_DEP_1) | instskip(NEXT) | instid1(VALU_DEP_1)
	v_fma_f32 v29, -v25, v28, v27
	v_fmac_f32_e32 v28, v29, v26
	s_delay_alu instid0(VALU_DEP_1) | instskip(SKIP_1) | instid1(VALU_DEP_1)
	v_fma_f32 v25, -v25, v28, v27
	s_wait_alu 0xfffd
	v_div_fmas_f32 v25, v25, v26, v28
	s_delay_alu instid0(VALU_DEP_1)
	v_div_fixup_f32 v23, v25, v24, v23
	global_store_b32 v[19:20], v23, off
	v_add_co_u32 v19, vcc_lo, v19, s0
	s_wait_alu 0xfffd
	v_add_co_ci_u32_e64 v20, null, s1, v20, vcc_lo
	s_cbranch_scc0 .LBB6_5
.LBB6_6:
	s_endpgm
	.section	.rodata,"a",@progbits
	.p2align	6, 0x0
	.amdhsa_kernel _ZL12ssm_conv_f32ILb1ELm128ELm9EEvPKfS1_S1_iiiiPfiiil
		.amdhsa_group_segment_fixed_size 0
		.amdhsa_private_segment_fixed_size 0
		.amdhsa_kernarg_size 72
		.amdhsa_user_sgpr_count 2
		.amdhsa_user_sgpr_dispatch_ptr 0
		.amdhsa_user_sgpr_queue_ptr 0
		.amdhsa_user_sgpr_kernarg_segment_ptr 1
		.amdhsa_user_sgpr_dispatch_id 0
		.amdhsa_user_sgpr_private_segment_size 0
		.amdhsa_wavefront_size32 1
		.amdhsa_uses_dynamic_stack 0
		.amdhsa_enable_private_segment 0
		.amdhsa_system_sgpr_workgroup_id_x 1
		.amdhsa_system_sgpr_workgroup_id_y 1
		.amdhsa_system_sgpr_workgroup_id_z 0
		.amdhsa_system_sgpr_workgroup_info 0
		.amdhsa_system_vgpr_workitem_id 0
		.amdhsa_next_free_vgpr 30
		.amdhsa_next_free_sgpr 102
		.amdhsa_reserve_vcc 1
		.amdhsa_float_round_mode_32 0
		.amdhsa_float_round_mode_16_64 0
		.amdhsa_float_denorm_mode_32 3
		.amdhsa_float_denorm_mode_16_64 3
		.amdhsa_fp16_overflow 0
		.amdhsa_workgroup_processor_mode 1
		.amdhsa_memory_ordered 1
		.amdhsa_forward_progress 1
		.amdhsa_inst_pref_size 17
		.amdhsa_round_robin_scheduling 0
		.amdhsa_exception_fp_ieee_invalid_op 0
		.amdhsa_exception_fp_denorm_src 0
		.amdhsa_exception_fp_ieee_div_zero 0
		.amdhsa_exception_fp_ieee_overflow 0
		.amdhsa_exception_fp_ieee_underflow 0
		.amdhsa_exception_fp_ieee_inexact 0
		.amdhsa_exception_int_div_zero 0
	.end_amdhsa_kernel
	.section	.text._ZL12ssm_conv_f32ILb1ELm128ELm9EEvPKfS1_S1_iiiiPfiiil,"axG",@progbits,_ZL12ssm_conv_f32ILb1ELm128ELm9EEvPKfS1_S1_iiiiPfiiil,comdat
.Lfunc_end6:
	.size	_ZL12ssm_conv_f32ILb1ELm128ELm9EEvPKfS1_S1_iiiiPfiiil, .Lfunc_end6-_ZL12ssm_conv_f32ILb1ELm128ELm9EEvPKfS1_S1_iiiiPfiiil
                                        ; -- End function
	.set _ZL12ssm_conv_f32ILb1ELm128ELm9EEvPKfS1_S1_iiiiPfiiil.num_vgpr, 30
	.set _ZL12ssm_conv_f32ILb1ELm128ELm9EEvPKfS1_S1_iiiiPfiiil.num_agpr, 0
	.set _ZL12ssm_conv_f32ILb1ELm128ELm9EEvPKfS1_S1_iiiiPfiiil.numbered_sgpr, 102
	.set _ZL12ssm_conv_f32ILb1ELm128ELm9EEvPKfS1_S1_iiiiPfiiil.num_named_barrier, 0
	.set _ZL12ssm_conv_f32ILb1ELm128ELm9EEvPKfS1_S1_iiiiPfiiil.private_seg_size, 0
	.set _ZL12ssm_conv_f32ILb1ELm128ELm9EEvPKfS1_S1_iiiiPfiiil.uses_vcc, 1
	.set _ZL12ssm_conv_f32ILb1ELm128ELm9EEvPKfS1_S1_iiiiPfiiil.uses_flat_scratch, 0
	.set _ZL12ssm_conv_f32ILb1ELm128ELm9EEvPKfS1_S1_iiiiPfiiil.has_dyn_sized_stack, 0
	.set _ZL12ssm_conv_f32ILb1ELm128ELm9EEvPKfS1_S1_iiiiPfiiil.has_recursion, 0
	.set _ZL12ssm_conv_f32ILb1ELm128ELm9EEvPKfS1_S1_iiiiPfiiil.has_indirect_call, 0
	.section	.AMDGPU.csdata,"",@progbits
; Kernel info:
; codeLenInByte = 2172
; TotalNumSgprs: 104
; NumVgprs: 30
; ScratchSize: 0
; MemoryBound: 0
; FloatMode: 240
; IeeeMode: 1
; LDSByteSize: 0 bytes/workgroup (compile time only)
; SGPRBlocks: 0
; VGPRBlocks: 3
; NumSGPRsForWavesPerEU: 104
; NumVGPRsForWavesPerEU: 30
; Occupancy: 16
; WaveLimiterHint : 0
; COMPUTE_PGM_RSRC2:SCRATCH_EN: 0
; COMPUTE_PGM_RSRC2:USER_SGPR: 2
; COMPUTE_PGM_RSRC2:TRAP_HANDLER: 0
; COMPUTE_PGM_RSRC2:TGID_X_EN: 1
; COMPUTE_PGM_RSRC2:TGID_Y_EN: 1
; COMPUTE_PGM_RSRC2:TGID_Z_EN: 0
; COMPUTE_PGM_RSRC2:TIDIG_COMP_CNT: 0
	.section	.text._ZL23ssm_conv_long_token_f32ILb1ELm128ELm9ELl32EEvPKfS1_S1_iiiiPfiiil,"axG",@progbits,_ZL23ssm_conv_long_token_f32ILb1ELm128ELm9ELl32EEvPKfS1_S1_iiiiPfiiil,comdat
	.globl	_ZL23ssm_conv_long_token_f32ILb1ELm128ELm9ELl32EEvPKfS1_S1_iiiiPfiiil ; -- Begin function _ZL23ssm_conv_long_token_f32ILb1ELm128ELm9ELl32EEvPKfS1_S1_iiiiPfiiil
	.p2align	8
	.type	_ZL23ssm_conv_long_token_f32ILb1ELm128ELm9ELl32EEvPKfS1_S1_iiiiPfiiil,@function
_ZL23ssm_conv_long_token_f32ILb1ELm128ELm9ELl32EEvPKfS1_S1_iiiiPfiiil: ; @_ZL23ssm_conv_long_token_f32ILb1ELm128ELm9ELl32EEvPKfS1_S1_iiiiPfiiil
; %bb.0:
	v_mul_u32_u24_e32 v1, 0x667, v0
	s_clause 0x1
	s_load_b128 s[4:7], s[0:1], 0x18
	s_load_b64 s[8:9], s[0:1], 0x0
	s_lshr_b32 s10, ttmp7, 11
	s_and_b32 s2, ttmp7, 0xffff
	v_lshrrev_b32_e32 v13, 16, v1
	s_and_b32 s12, s10, 0x1fffe0
	s_mov_b32 s3, 0
	s_lshl_b32 s2, s2, 7
	s_mov_b32 s13, s3
	v_mul_lo_u16 v1, v13, 40
	s_delay_alu instid0(VALU_DEP_1) | instskip(NEXT) | instid1(VALU_DEP_1)
	v_sub_nc_u16 v5, v0, v1
	v_or_b32_e32 v1, 0x80, v5
	v_and_b32_e32 v15, 0xffff, v5
	s_wait_kmcnt 0x0
	s_mul_i32 s10, s6, ttmp9
	s_ashr_i32 s6, s5, 2
	s_ashr_i32 s15, s5, 31
	v_mul_lo_u16 v2, 0xcd, v1
	s_mov_b32 s14, s5
	s_ashr_i32 s11, s10, 31
	s_ashr_i32 s17, s4, 31
	s_mov_b32 s16, s4
	v_lshrrev_b16 v8, 13, v2
	s_mul_u64 s[4:5], s[2:3], s[14:15]
	s_add_nc_u64 s[8:9], s[8:9], s[10:11]
	s_mul_u64 s[14:15], s[12:13], s[16:17]
	s_add_nc_u64 s[4:5], s[8:9], s[4:5]
	v_mul_lo_u16 v2, v8, 40
	v_and_b32_e32 v8, 0xffff, v8
	s_add_nc_u64 s[4:5], s[4:5], s[14:15]
	s_mov_b32 s8, exec_lo
	s_delay_alu instid0(VALU_DEP_2) | instskip(NEXT) | instid1(VALU_DEP_2)
	v_sub_nc_u16 v1, v1, v2
	v_add_nc_u32_e32 v19, v13, v8
	s_delay_alu instid0(VALU_DEP_2) | instskip(NEXT) | instid1(VALU_DEP_2)
	v_and_b32_e32 v14, 0xff, v1
	v_mul_u32_u24_e32 v25, 0xa0, v19
	s_delay_alu instid0(VALU_DEP_2) | instskip(NEXT) | instid1(VALU_DEP_1)
	v_or_b32_e32 v1, 0x80, v14
	v_mul_lo_u16 v2, 0xcd, v1
	s_delay_alu instid0(VALU_DEP_1) | instskip(NEXT) | instid1(VALU_DEP_1)
	v_lshrrev_b16 v10, 13, v2
	v_mul_lo_u16 v2, v10, 40
	v_and_b32_e32 v10, 0xffff, v10
	s_delay_alu instid0(VALU_DEP_2) | instskip(NEXT) | instid1(VALU_DEP_2)
	v_sub_nc_u16 v1, v1, v2
	v_add_nc_u32_e32 v21, v19, v10
	s_delay_alu instid0(VALU_DEP_2) | instskip(NEXT) | instid1(VALU_DEP_2)
	v_and_b32_e32 v17, 0xff, v1
	v_mul_u32_u24_e32 v27, 0xa0, v21
	s_delay_alu instid0(VALU_DEP_2) | instskip(SKIP_1) | instid1(VALU_DEP_2)
	v_or_b32_e32 v1, 0x80, v17
	v_lshlrev_b32_e32 v30, 2, v17
	v_mul_lo_u16 v2, 0xcd, v1
	s_delay_alu instid0(VALU_DEP_2) | instskip(NEXT) | instid1(VALU_DEP_2)
	v_add3_u32 v43, 0, v27, v30
	v_lshrrev_b16 v16, 13, v2
	s_delay_alu instid0(VALU_DEP_1) | instskip(NEXT) | instid1(VALU_DEP_1)
	v_mul_lo_u16 v2, v16, 40
	v_sub_nc_u16 v1, v1, v2
	s_delay_alu instid0(VALU_DEP_1) | instskip(NEXT) | instid1(VALU_DEP_1)
	v_and_b32_e32 v1, 0xff, v1
	v_or_b32_e32 v2, 0x80, v1
	s_delay_alu instid0(VALU_DEP_1) | instskip(NEXT) | instid1(VALU_DEP_1)
	v_mul_lo_u16 v3, 0xcd, v2
	v_lshrrev_b16 v18, 13, v3
	s_delay_alu instid0(VALU_DEP_1) | instskip(NEXT) | instid1(VALU_DEP_1)
	v_mul_lo_u16 v3, v18, 40
	v_sub_nc_u16 v2, v2, v3
	s_delay_alu instid0(VALU_DEP_1) | instskip(NEXT) | instid1(VALU_DEP_1)
	v_and_b32_e32 v2, 0xff, v2
	v_or_b32_e32 v3, 0x80, v2
	s_delay_alu instid0(VALU_DEP_1) | instskip(NEXT) | instid1(VALU_DEP_1)
	v_mul_lo_u16 v4, 0xcd, v3
	v_lshrrev_b16 v20, 13, v4
	s_delay_alu instid0(VALU_DEP_1) | instskip(SKIP_1) | instid1(VALU_DEP_2)
	v_mul_lo_u16 v4, v20, 40
	v_and_b32_e32 v20, 0xffff, v20
	v_sub_nc_u16 v3, v3, v4
	s_delay_alu instid0(VALU_DEP_1) | instskip(NEXT) | instid1(VALU_DEP_1)
	v_and_b32_e32 v3, 0xff, v3
	v_or_b32_e32 v4, 0x80, v3
	s_delay_alu instid0(VALU_DEP_1) | instskip(NEXT) | instid1(VALU_DEP_1)
	v_mul_lo_u16 v6, 0xcd, v4
	v_lshrrev_b16 v24, 13, v6
	s_delay_alu instid0(VALU_DEP_1) | instskip(NEXT) | instid1(VALU_DEP_1)
	v_mul_lo_u16 v6, v24, 40
	v_sub_nc_u16 v4, v4, v6
	s_delay_alu instid0(VALU_DEP_1) | instskip(NEXT) | instid1(VALU_DEP_1)
	v_and_b32_e32 v4, 0xff, v4
	v_or_b32_e32 v6, 0x80, v4
	s_delay_alu instid0(VALU_DEP_1) | instskip(NEXT) | instid1(VALU_DEP_1)
	v_mul_lo_u16 v7, 0xcd, v6
	v_lshrrev_b16 v26, 13, v7
	s_delay_alu instid0(VALU_DEP_1) | instskip(NEXT) | instid1(VALU_DEP_1)
	v_mul_lo_u16 v7, v26, 40
	v_sub_nc_u16 v6, v6, v7
	s_delay_alu instid0(VALU_DEP_1) | instskip(SKIP_3) | instid1(VALU_DEP_4)
	v_and_b32_e32 v5, 0xff, v6
	v_mad_co_u64_u32 v[6:7], null, s6, v13, v[15:16]
	v_mul_u32_u24_e32 v13, 0xa0, v13
	v_and_b32_e32 v16, 0xffff, v16
	v_or_b32_e32 v11, 0x80, v5
	s_delay_alu instid0(VALU_DEP_4) | instskip(NEXT) | instid1(VALU_DEP_2)
	v_ashrrev_i32_e32 v7, 31, v6
	v_mul_lo_u16 v9, 0xcd, v11
	s_delay_alu instid0(VALU_DEP_2) | instskip(NEXT) | instid1(VALU_DEP_2)
	v_lshlrev_b64_e32 v[6:7], 2, v[6:7]
	v_lshrrev_b16 v28, 13, v9
	v_mad_co_u64_u32 v[8:9], null, v19, s6, v[14:15]
	v_lshlrev_b32_e32 v15, 2, v15
	v_lshlrev_b32_e32 v14, 2, v14
	s_delay_alu instid0(VALU_DEP_4) | instskip(SKIP_1) | instid1(VALU_DEP_1)
	v_mul_lo_u16 v9, v28, 40
	v_add_co_u32 v6, vcc_lo, s4, v6
	v_add_co_ci_u32_e64 v7, null, s5, v7, vcc_lo
	s_delay_alu instid0(VALU_DEP_3)
	v_sub_nc_u16 v11, v11, v9
	v_ashrrev_i32_e32 v9, 31, v8
	v_add3_u32 v41, 0, v13, v15
	global_load_b32 v33, v[6:7], off
	v_add_nc_u32_e32 v15, v21, v16
	v_and_b32_e32 v6, 0xff, v11
	v_lshlrev_b64_e32 v[7:8], 2, v[8:9]
	v_mad_co_u64_u32 v[9:10], null, v21, s6, v[17:18]
	v_and_b32_e32 v16, 0xffff, v18
	s_delay_alu instid0(VALU_DEP_4)
	v_or_b32_e32 v11, 0x80, v6
	v_add3_u32 v42, 0, v25, v14
	v_add_co_u32 v7, vcc_lo, s4, v7
	s_wait_alu 0xfffd
	v_add_co_ci_u32_e64 v8, null, s5, v8, vcc_lo
	v_ashrrev_i32_e32 v10, 31, v9
	v_mul_lo_u16 v12, 0xcd, v11
	v_add_nc_u32_e32 v16, v15, v16
	global_load_b32 v34, v[7:8], off
	v_mad_co_u64_u32 v[18:19], null, v15, s6, v[1:2]
	v_lshlrev_b64_e32 v[7:8], 2, v[9:10]
	v_lshrrev_b16 v29, 13, v12
	v_add_nc_u32_e32 v17, v16, v20
	v_mad_co_u64_u32 v[20:21], null, v16, s6, v[2:3]
	v_and_b32_e32 v21, 0xffff, v24
	v_add_co_u32 v7, vcc_lo, s4, v7
	s_wait_alu 0xfffd
	v_add_co_ci_u32_e64 v8, null, s5, v8, vcc_lo
	v_mul_lo_u16 v9, v29, 40
	v_add_nc_u32_e32 v63, v17, v21
	v_and_b32_e32 v28, 0xffff, v28
	global_load_b32 v35, v[7:8], off
	v_ashrrev_i32_e32 v19, 31, v18
	v_sub_nc_u16 v9, v11, v9
	v_mad_co_u64_u32 v[24:25], null, v63, s6, v[4:5]
	v_ashrrev_i32_e32 v21, 31, v20
	v_and_b32_e32 v45, 0xffff, v29
	s_delay_alu instid0(VALU_DEP_4)
	v_and_b32_e32 v7, 0xff, v9
	v_lshlrev_b64_e32 v[18:19], 2, v[18:19]
	v_lshlrev_b32_e32 v1, 2, v1
	v_lshlrev_b64_e32 v[20:21], 2, v[20:21]
	v_lshlrev_b32_e32 v2, 2, v2
	v_or_b32_e32 v8, 0x80, v7
	v_add_co_u32 v18, vcc_lo, s4, v18
	s_wait_alu 0xfffd
	v_add_co_ci_u32_e64 v19, null, s5, v19, vcc_lo
	s_delay_alu instid0(VALU_DEP_3) | instskip(SKIP_3) | instid1(VALU_DEP_3)
	v_mul_lo_u16 v9, 0xcd, v8
	v_add_co_u32 v20, vcc_lo, s4, v20
	s_wait_alu 0xfffd
	v_add_co_ci_u32_e64 v21, null, s5, v21, vcc_lo
	v_lshrrev_b16 v32, 13, v9
	s_delay_alu instid0(VALU_DEP_1) | instskip(NEXT) | instid1(VALU_DEP_1)
	v_mul_lo_u16 v9, v32, 40
	v_sub_nc_u16 v8, v8, v9
	s_delay_alu instid0(VALU_DEP_1) | instskip(NEXT) | instid1(VALU_DEP_1)
	v_and_b32_e32 v8, 0xff, v8
	v_or_b32_e32 v9, 0x80, v8
	s_delay_alu instid0(VALU_DEP_1) | instskip(NEXT) | instid1(VALU_DEP_1)
	v_mul_lo_u16 v10, 0xcd, v9
	v_lshrrev_b16 v36, 13, v10
	s_delay_alu instid0(VALU_DEP_1) | instskip(NEXT) | instid1(VALU_DEP_1)
	v_mul_lo_u16 v10, v36, 40
	v_sub_nc_u16 v9, v9, v10
	s_delay_alu instid0(VALU_DEP_1) | instskip(NEXT) | instid1(VALU_DEP_1)
	v_and_b32_e32 v9, 0xff, v9
	v_or_b32_e32 v10, 0x80, v9
	s_delay_alu instid0(VALU_DEP_1) | instskip(NEXT) | instid1(VALU_DEP_1)
	v_mul_lo_u16 v11, 0xcd, v10
	;; [unrolled: 9-line block ×5, first 2 shown]
	v_lshrrev_b16 v40, 13, v23
	s_delay_alu instid0(VALU_DEP_1) | instskip(NEXT) | instid1(VALU_DEP_1)
	v_mul_lo_u16 v13, v40, 40
	v_sub_nc_u16 v13, v22, v13
	v_mad_co_u64_u32 v[22:23], null, v17, s6, v[3:4]
	v_lshlrev_b32_e32 v3, 2, v3
	s_delay_alu instid0(VALU_DEP_3) | instskip(NEXT) | instid1(VALU_DEP_3)
	v_and_b32_e32 v13, 0xff, v13
	v_ashrrev_i32_e32 v23, 31, v22
	s_delay_alu instid0(VALU_DEP_2) | instskip(NEXT) | instid1(VALU_DEP_2)
	v_or_b32_e32 v31, 0x80, v13
	v_lshlrev_b64_e32 v[22:23], 2, v[22:23]
	s_delay_alu instid0(VALU_DEP_2) | instskip(NEXT) | instid1(VALU_DEP_1)
	v_mul_lo_u16 v14, 0xcd, v31
	v_lshrrev_b16 v44, 13, v14
	v_and_b32_e32 v14, 0xffff, v26
	s_delay_alu instid0(VALU_DEP_4) | instskip(SKIP_4) | instid1(VALU_DEP_2)
	v_add_co_u32 v22, vcc_lo, s4, v22
	s_wait_alu 0xfffd
	v_add_co_ci_u32_e64 v23, null, s5, v23, vcc_lo
	v_mul_lo_u16 v25, v44, 40
	v_add_nc_u32_e32 v64, v63, v14
	v_sub_nc_u16 v14, v31, v25
	s_delay_alu instid0(VALU_DEP_2) | instskip(SKIP_2) | instid1(VALU_DEP_4)
	v_mad_co_u64_u32 v[26:27], null, v64, s6, v[5:6]
	v_add_nc_u32_e32 v65, v64, v28
	v_ashrrev_i32_e32 v25, 31, v24
	v_and_b32_e32 v14, 0xff, v14
	s_delay_alu instid0(VALU_DEP_3) | instskip(NEXT) | instid1(VALU_DEP_2)
	v_mad_co_u64_u32 v[28:29], null, v65, s6, v[6:7]
	v_or_b32_e32 v30, 0x80, v14
	v_ashrrev_i32_e32 v27, 31, v26
	v_add_nc_u32_e32 v66, v65, v45
	v_lshlrev_b64_e32 v[24:25], 2, v[24:25]
	v_lshlrev_b32_e32 v6, 2, v6
	v_mul_lo_u16 v31, 0xcd, v30
	v_lshlrev_b64_e32 v[26:27], 2, v[26:27]
	s_delay_alu instid0(VALU_DEP_4) | instskip(NEXT) | instid1(VALU_DEP_3)
	v_add_co_u32 v24, vcc_lo, s4, v24
	v_lshrrev_b16 v46, 13, v31
	s_wait_alu 0xfffd
	v_add_co_ci_u32_e64 v25, null, s5, v25, vcc_lo
	s_delay_alu instid0(VALU_DEP_4) | instskip(NEXT) | instid1(VALU_DEP_3)
	v_add_co_u32 v26, vcc_lo, s4, v26
	v_mul_lo_u16 v29, v46, 40
	s_wait_alu 0xfffd
	v_add_co_ci_u32_e64 v27, null, s5, v27, vcc_lo
	s_clause 0x4
	global_load_b32 v67, v[18:19], off
	global_load_b32 v68, v[20:21], off
	;; [unrolled: 1-line block ×5, first 2 shown]
	v_sub_nc_u16 v45, v30, v29
	v_mad_co_u64_u32 v[30:31], null, v66, s6, v[7:8]
	v_and_b32_e32 v31, 0xffff, v32
	v_ashrrev_i32_e32 v29, 31, v28
	s_delay_alu instid0(VALU_DEP_4) | instskip(NEXT) | instid1(VALU_DEP_3)
	v_and_b32_e32 v32, 0xff, v45
	v_add_nc_u32_e32 v72, v66, v31
	s_delay_alu instid0(VALU_DEP_3) | instskip(NEXT) | instid1(VALU_DEP_3)
	v_lshlrev_b64_e32 v[18:19], 2, v[28:29]
	v_or_b32_e32 v26, 0x80, v32
	v_ashrrev_i32_e32 v31, 31, v30
	s_delay_alu instid0(VALU_DEP_4) | instskip(SKIP_1) | instid1(VALU_DEP_4)
	v_mad_co_u64_u32 v[20:21], null, v72, s6, v[8:9]
	v_and_b32_e32 v21, 0xffff, v36
	v_mul_lo_u16 v24, 0xcd, v26
	s_delay_alu instid0(VALU_DEP_4) | instskip(SKIP_1) | instid1(VALU_DEP_4)
	v_lshlrev_b64_e32 v[22:23], 2, v[30:31]
	v_add_co_u32 v18, vcc_lo, s4, v18
	v_add_nc_u32_e32 v73, v72, v21
	s_delay_alu instid0(VALU_DEP_4)
	v_lshrrev_b16 v45, 13, v24
	v_ashrrev_i32_e32 v21, 31, v20
	s_wait_alu 0xfffd
	v_add_co_ci_u32_e64 v19, null, s5, v19, vcc_lo
	v_mad_co_u64_u32 v[24:25], null, v73, s6, v[9:10]
	v_and_b32_e32 v25, 0xffff, v37
	v_mul_lo_u16 v27, v45, 40
	v_lshlrev_b64_e32 v[20:21], 2, v[20:21]
	v_add_co_u32 v22, vcc_lo, s4, v22
	s_delay_alu instid0(VALU_DEP_4) | instskip(NEXT) | instid1(VALU_DEP_4)
	v_add_nc_u32_e32 v74, v73, v25
	v_sub_nc_u16 v28, v26, v27
	v_ashrrev_i32_e32 v25, 31, v24
	s_wait_alu 0xfffd
	v_add_co_ci_u32_e64 v23, null, s5, v23, vcc_lo
	v_mad_co_u64_u32 v[26:27], null, v74, s6, v[10:11]
	v_and_b32_e32 v28, 0xff, v28
	v_and_b32_e32 v27, 0xffff, v38
	v_lshlrev_b64_e32 v[24:25], 2, v[24:25]
	v_add_co_u32 v20, vcc_lo, s4, v20
	s_delay_alu instid0(VALU_DEP_4) | instskip(NEXT) | instid1(VALU_DEP_4)
	v_or_b32_e32 v31, 0x80, v28
	v_add_nc_u32_e32 v75, v74, v27
	s_wait_loadcnt 0x7
	ds_store_b32 v41, v33
	v_ashrrev_i32_e32 v27, 31, v26
	s_wait_alu 0xfffd
	v_add_co_ci_u32_e64 v21, null, s5, v21, vcc_lo
	v_mul_lo_u16 v33, 0xcd, v31
	v_mad_co_u64_u32 v[29:30], null, v75, s6, v[11:12]
	v_and_b32_e32 v30, 0xffff, v39
	v_and_b32_e32 v39, 0xffff, v46
	s_delay_alu instid0(VALU_DEP_4) | instskip(SKIP_3) | instid1(VALU_DEP_4)
	v_lshrrev_b16 v47, 13, v33
	v_lshlrev_b64_e32 v[26:27], 2, v[26:27]
	v_add_co_u32 v24, vcc_lo, s4, v24
	v_add_nc_u32_e32 v76, v75, v30
	v_mul_lo_u16 v36, v47, 40
	s_wait_loadcnt 0x6
	ds_store_b32 v42, v34
	v_ashrrev_i32_e32 v30, 31, v29
	s_wait_alu 0xfffd
	v_add_co_ci_u32_e64 v25, null, s5, v25, vcc_lo
	v_mad_co_u64_u32 v[33:34], null, v76, s6, v[12:13]
	v_and_b32_e32 v34, 0xffff, v40
	v_sub_nc_u16 v31, v31, v36
	v_lshlrev_b64_e32 v[29:30], 2, v[29:30]
	v_add_co_u32 v26, vcc_lo, s4, v26
	s_delay_alu instid0(VALU_DEP_4) | instskip(NEXT) | instid1(VALU_DEP_4)
	v_add_nc_u32_e32 v77, v76, v34
	v_and_b32_e32 v31, 0xff, v31
	s_wait_alu 0xfffd
	v_add_co_ci_u32_e64 v27, null, s5, v27, vcc_lo
	s_wait_loadcnt 0x5
	ds_store_b32 v43, v35
	v_mad_co_u64_u32 v[35:36], null, v77, s6, v[13:14]
	v_and_b32_e32 v36, 0xffff, v44
	v_or_b32_e32 v43, 0x80, v31
	v_add_co_u32 v29, vcc_lo, s4, v29
	v_ashrrev_i32_e32 v34, 31, v33
	s_delay_alu instid0(VALU_DEP_4) | instskip(NEXT) | instid1(VALU_DEP_4)
	v_add_nc_u32_e32 v78, v77, v36
	v_mul_lo_u16 v40, 0xcd, v43
	s_wait_alu 0xfffd
	v_add_co_ci_u32_e64 v30, null, s5, v30, vcc_lo
	v_lshlrev_b64_e32 v[33:34], 2, v[33:34]
	v_add_nc_u32_e32 v79, v78, v39
	v_and_b32_e32 v39, 0xffff, v45
	v_lshrrev_b16 v46, 13, v40
	v_mad_co_u64_u32 v[37:38], null, v78, s6, v[14:15]
	v_add_co_u32 v33, vcc_lo, s4, v33
	s_delay_alu instid0(VALU_DEP_4) | instskip(NEXT) | instid1(VALU_DEP_4)
	v_add_nc_u32_e32 v80, v79, v39
	v_mul_lo_u16 v44, v46, 40
	v_ashrrev_i32_e32 v36, 31, v35
	s_delay_alu instid0(VALU_DEP_4) | instskip(NEXT) | instid1(VALU_DEP_4)
	v_mad_co_u64_u32 v[39:40], null, v79, s6, v[32:33]
	v_mad_co_u64_u32 v[41:42], null, v80, s6, v[28:29]
	s_delay_alu instid0(VALU_DEP_4)
	v_sub_nc_u16 v42, v43, v44
	v_and_b32_e32 v40, 0xffff, v47
	v_ashrrev_i32_e32 v38, 31, v37
	v_lshlrev_b64_e32 v[35:36], 2, v[35:36]
	s_wait_alu 0xfffd
	v_add_co_ci_u32_e64 v34, null, s5, v34, vcc_lo
	v_and_b32_e32 v43, 0xff, v42
	v_add_nc_u32_e32 v81, v80, v40
	v_ashrrev_i32_e32 v40, 31, v39
	v_ashrrev_i32_e32 v42, 31, v41
	v_lshlrev_b64_e32 v[37:38], 2, v[37:38]
	v_or_b32_e32 v48, 0x80, v43
	v_mad_co_u64_u32 v[44:45], null, v81, s6, v[31:32]
	v_and_b32_e32 v45, 0xffff, v46
	v_lshlrev_b64_e32 v[39:40], 2, v[39:40]
	s_delay_alu instid0(VALU_DEP_4) | instskip(SKIP_1) | instid1(VALU_DEP_4)
	v_mul_lo_u16 v49, 0xcd, v48
	v_add_co_u32 v35, vcc_lo, s4, v35
	v_add_nc_u32_e32 v82, v81, v45
	v_ashrrev_i32_e32 v45, 31, v44
	s_delay_alu instid0(VALU_DEP_4)
	v_lshrrev_b16 v49, 13, v49
	v_lshlrev_b64_e32 v[41:42], 2, v[41:42]
	s_wait_alu 0xfffd
	v_add_co_ci_u32_e64 v36, null, s5, v36, vcc_lo
	v_mad_co_u64_u32 v[46:47], null, v82, s6, v[43:44]
	v_mul_lo_u16 v50, v49, 40
	v_and_b32_e32 v49, 0xffff, v49
	v_add_co_u32 v37, vcc_lo, s4, v37
	v_lshlrev_b64_e32 v[44:45], 2, v[44:45]
	s_delay_alu instid0(VALU_DEP_4) | instskip(NEXT) | instid1(VALU_DEP_4)
	v_sub_nc_u16 v48, v48, v50
	v_add_nc_u32_e32 v83, v82, v49
	v_ashrrev_i32_e32 v47, 31, v46
	s_wait_alu 0xfffd
	v_add_co_ci_u32_e64 v38, null, s5, v38, vcc_lo
	v_and_b32_e32 v48, 0xff, v48
	v_add_co_u32 v39, vcc_lo, s4, v39
	v_lshlrev_b64_e32 v[46:47], 2, v[46:47]
	s_wait_alu 0xfffd
	v_add_co_ci_u32_e64 v40, null, s5, v40, vcc_lo
	v_or_b32_e32 v51, 0x80, v48
	v_mad_co_u64_u32 v[49:50], null, v83, s6, v[48:49]
	v_add_co_u32 v41, vcc_lo, s4, v41
	s_delay_alu instid0(VALU_DEP_3) | instskip(SKIP_3) | instid1(VALU_DEP_3)
	v_mul_lo_u16 v52, 0xcd, v51
	s_wait_alu 0xfffd
	v_add_co_ci_u32_e64 v42, null, s5, v42, vcc_lo
	v_add_co_u32 v44, vcc_lo, s4, v44
	v_lshrrev_b16 v52, 13, v52
	v_ashrrev_i32_e32 v50, 31, v49
	s_wait_alu 0xfffd
	v_add_co_ci_u32_e64 v45, null, s5, v45, vcc_lo
	v_add_co_u32 v46, vcc_lo, s4, v46
	v_mul_lo_u16 v53, v52, 40
	v_and_b32_e32 v52, 0xffff, v52
	v_lshlrev_b64_e32 v[49:50], 2, v[49:50]
	s_wait_alu 0xfffd
	v_add_co_ci_u32_e64 v47, null, s5, v47, vcc_lo
	v_sub_nc_u16 v51, v51, v53
	v_add_nc_u32_e32 v84, v83, v52
	v_mul_u32_u24_e32 v15, 0xa0, v15
	v_add_co_u32 v49, vcc_lo, s4, v49
	s_delay_alu instid0(VALU_DEP_4)
	v_and_b32_e32 v51, 0xff, v51
	s_wait_alu 0xfffd
	v_add_co_ci_u32_e64 v50, null, s5, v50, vcc_lo
	v_add3_u32 v1, 0, v15, v1
	v_mul_u32_u24_e32 v15, 0xa0, v16
	v_or_b32_e32 v54, 0x80, v51
	v_mad_co_u64_u32 v[52:53], null, v84, s6, v[51:52]
	v_mul_u32_u24_e32 v16, 0xa0, v17
	v_mul_lo_u32 v17, 0xa0, v63
	s_delay_alu instid0(VALU_DEP_4) | instskip(SKIP_1) | instid1(VALU_DEP_4)
	v_mul_lo_u16 v55, 0xcd, v54
	v_add3_u32 v2, 0, v15, v2
	v_add3_u32 v3, 0, v16, v3
	v_ashrrev_i32_e32 v53, 31, v52
	s_delay_alu instid0(VALU_DEP_4) | instskip(NEXT) | instid1(VALU_DEP_2)
	v_lshrrev_b16 v55, 13, v55
	v_lshlrev_b64_e32 v[52:53], 2, v[52:53]
	s_delay_alu instid0(VALU_DEP_2) | instskip(SKIP_1) | instid1(VALU_DEP_2)
	v_mul_lo_u16 v56, v55, 40
	v_and_b32_e32 v55, 0xffff, v55
	v_sub_nc_u16 v54, v54, v56
	s_delay_alu instid0(VALU_DEP_2) | instskip(SKIP_4) | instid1(VALU_DEP_1)
	v_add_nc_u32_e32 v85, v84, v55
	v_add_co_u32 v52, vcc_lo, s4, v52
	s_wait_alu 0xfffd
	v_add_co_ci_u32_e64 v53, null, s5, v53, vcc_lo
	v_and_b32_e32 v54, 0xff, v54
	v_or_b32_e32 v57, 0x80, v54
	v_mad_co_u64_u32 v[55:56], null, v85, s6, v[54:55]
	s_delay_alu instid0(VALU_DEP_2) | instskip(NEXT) | instid1(VALU_DEP_2)
	v_mul_lo_u16 v58, 0xcd, v57
	v_ashrrev_i32_e32 v56, 31, v55
	s_delay_alu instid0(VALU_DEP_2) | instskip(NEXT) | instid1(VALU_DEP_2)
	v_lshrrev_b16 v58, 13, v58
	v_lshlrev_b64_e32 v[55:56], 2, v[55:56]
	s_delay_alu instid0(VALU_DEP_2) | instskip(SKIP_1) | instid1(VALU_DEP_2)
	v_mul_lo_u16 v59, v58, 40
	v_and_b32_e32 v58, 0xffff, v58
	v_sub_nc_u16 v57, v57, v59
	s_delay_alu instid0(VALU_DEP_2) | instskip(SKIP_4) | instid1(VALU_DEP_1)
	v_add_nc_u32_e32 v86, v85, v58
	v_add_co_u32 v55, vcc_lo, s4, v55
	s_wait_alu 0xfffd
	v_add_co_ci_u32_e64 v56, null, s5, v56, vcc_lo
	v_and_b32_e32 v57, 0xff, v57
	v_or_b32_e32 v60, 0x80, v57
	v_mad_co_u64_u32 v[58:59], null, v86, s6, v[57:58]
	s_delay_alu instid0(VALU_DEP_2) | instskip(NEXT) | instid1(VALU_DEP_2)
	v_mul_lo_u16 v61, 0xcd, v60
	v_ashrrev_i32_e32 v59, 31, v58
	s_delay_alu instid0(VALU_DEP_2) | instskip(NEXT) | instid1(VALU_DEP_2)
	v_lshrrev_b16 v61, 13, v61
	v_lshlrev_b64_e32 v[58:59], 2, v[58:59]
	s_delay_alu instid0(VALU_DEP_2) | instskip(SKIP_1) | instid1(VALU_DEP_2)
	v_mul_lo_u16 v62, v61, 40
	v_and_b32_e32 v61, 0xffff, v61
	v_sub_nc_u16 v60, v60, v62
	s_delay_alu instid0(VALU_DEP_2) | instskip(SKIP_4) | instid1(VALU_DEP_1)
	v_add_nc_u32_e32 v87, v86, v61
	v_add_co_u32 v58, vcc_lo, s4, v58
	s_wait_alu 0xfffd
	v_add_co_ci_u32_e64 v59, null, s5, v59, vcc_lo
	v_and_b32_e32 v60, 0xff, v60
	v_mad_co_u64_u32 v[61:62], null, v87, s6, v[60:61]
	s_delay_alu instid0(VALU_DEP_1) | instskip(NEXT) | instid1(VALU_DEP_1)
	v_ashrrev_i32_e32 v62, 31, v61
	v_lshlrev_b64_e32 v[61:62], 2, v[61:62]
	s_delay_alu instid0(VALU_DEP_1) | instskip(SKIP_1) | instid1(VALU_DEP_2)
	v_add_co_u32 v61, vcc_lo, s4, v61
	s_wait_alu 0xfffd
	v_add_co_ci_u32_e64 v62, null, s5, v62, vcc_lo
	s_clause 0x11
	global_load_b32 v18, v[18:19], off
	global_load_b32 v19, v[22:23], off
	;; [unrolled: 1-line block ×18, first 2 shown]
	v_mul_lo_u32 v39, 0xa0, v64
	s_wait_loadcnt 0x16
	ds_store_b32 v1, v67
	v_lshlrev_b32_e32 v1, 2, v4
	v_lshlrev_b32_e32 v4, 2, v5
	v_mul_lo_u32 v5, 0xa0, v65
	s_delay_alu instid0(VALU_DEP_3) | instskip(NEXT) | instid1(VALU_DEP_3)
	v_add3_u32 v1, 0, v17, v1
	v_add3_u32 v4, 0, v39, v4
	s_wait_loadcnt 0x15
	ds_store_b32 v2, v68
	s_wait_loadcnt 0x14
	ds_store_b32 v3, v69
	;; [unrolled: 2-line block ×4, first 2 shown]
	v_mul_lo_u32 v2, 0xa0, v66
	v_mul_lo_u32 v4, 0xa0, v72
	v_add3_u32 v1, 0, v5, v6
	v_lshlrev_b32_e32 v3, 2, v7
	v_lshlrev_b32_e32 v5, 2, v8
	v_mul_lo_u32 v6, 0xa0, v73
	v_mul_lo_u32 v7, 0xa0, v74
	v_lshlrev_b32_e32 v8, 2, v10
	v_add3_u32 v2, 0, v2, v3
	v_add3_u32 v3, 0, v4, v5
	v_mul_lo_u32 v4, 0xa0, v75
	v_lshlrev_b32_e32 v10, 2, v60
	v_add3_u32 v5, 0, v7, v8
	v_mul_lo_u32 v7, 0xa0, v79
	v_lshlrev_b32_e32 v8, 2, v32
	s_wait_loadcnt 0x11
	ds_store_b32 v1, v18
	v_lshlrev_b32_e32 v1, 2, v9
	v_lshlrev_b32_e32 v9, 2, v57
	s_delay_alu instid0(VALU_DEP_2)
	v_add3_u32 v1, 0, v6, v1
	v_lshlrev_b32_e32 v6, 2, v11
	s_wait_loadcnt 0x10
	ds_store_b32 v2, v19
	s_wait_loadcnt 0xf
	ds_store_b32 v3, v20
	s_wait_loadcnt 0xe
	ds_store_b32 v1, v21
	s_wait_loadcnt 0xd
	ds_store_b32 v5, v22
	v_mul_lo_u32 v2, 0xa0, v76
	v_lshlrev_b32_e32 v3, 2, v12
	v_add3_u32 v1, 0, v4, v6
	v_mul_lo_u32 v4, 0xa0, v77
	v_lshlrev_b32_e32 v5, 2, v13
	v_mul_lo_u32 v6, 0xa0, v78
	s_wait_loadcnt 0xc
	ds_store_b32 v1, v23
	v_lshlrev_b32_e32 v1, 2, v14
	v_add3_u32 v2, 0, v2, v3
	v_add3_u32 v3, 0, v4, v5
	v_mul_lo_u32 v4, 0xa0, v80
	s_delay_alu instid0(VALU_DEP_4)
	v_add3_u32 v1, 0, v6, v1
	v_lshlrev_b32_e32 v6, 2, v28
	v_add3_u32 v5, 0, v7, v8
	s_wait_loadcnt 0xb
	ds_store_b32 v2, v24
	s_wait_loadcnt 0xa
	ds_store_b32 v3, v25
	;; [unrolled: 2-line block ×4, first 2 shown]
	v_mul_lo_u32 v2, 0xa0, v81
	v_mul_lo_u32 v5, 0xa0, v83
	v_add3_u32 v1, 0, v4, v6
	v_mul_lo_u32 v3, 0xa0, v82
	v_lshlrev_b32_e32 v4, 2, v31
	v_or_b32_e32 v7, 0x80, v60
	v_lshlrev_b32_e32 v6, 2, v43
	s_wait_loadcnt 0x7
	ds_store_b32 v1, v29
	v_lshlrev_b32_e32 v1, 2, v48
	v_add3_u32 v2, 0, v2, v4
	v_mul_lo_u32 v4, 0xa0, v84
	v_add3_u32 v3, 0, v3, v6
	v_lshlrev_b32_e32 v6, 2, v51
	v_add3_u32 v1, 0, v5, v1
	v_mul_lo_u16 v5, 0xcd, v7
	s_wait_loadcnt 0x6
	ds_store_b32 v2, v30
	s_wait_loadcnt 0x5
	ds_store_b32 v3, v33
	;; [unrolled: 2-line block ×3, first 2 shown]
	v_lshlrev_b32_e32 v8, 2, v54
	v_add3_u32 v3, 0, v4, v6
	v_lshrrev_b16 v1, 13, v5
	v_mul_lo_u32 v4, 0xa0, v85
	v_mul_lo_u32 v5, 0xa0, v86
	;; [unrolled: 1-line block ×3, first 2 shown]
	s_delay_alu instid0(VALU_DEP_4) | instskip(SKIP_2) | instid1(VALU_DEP_3)
	v_mul_lo_u16 v2, v1, 40
	v_and_b32_e32 v1, 0xffff, v1
	v_add3_u32 v4, 0, v4, v8
	v_sub_nc_u16 v7, v7, v2
	s_delay_alu instid0(VALU_DEP_3)
	v_add_nc_u32_e32 v2, v87, v1
	v_add3_u32 v5, 0, v5, v9
	v_add3_u32 v6, 0, v6, v10
	s_wait_loadcnt 0x3
	ds_store_b32 v3, v35
	s_wait_loadcnt 0x2
	ds_store_b32 v4, v36
	;; [unrolled: 2-line block ×4, first 2 shown]
	v_and_b32_e32 v1, 0xff, v7
	v_cmpx_gt_u32_e32 0x80, v2
	s_cbranch_execz .LBB7_2
; %bb.1:
	s_delay_alu instid0(VALU_DEP_2) | instskip(SKIP_1) | instid1(VALU_DEP_2)
	v_mad_co_u64_u32 v[3:4], null, v2, s6, v[1:2]
	v_lshlrev_b32_e32 v5, 2, v1
	v_ashrrev_i32_e32 v4, 31, v3
	s_delay_alu instid0(VALU_DEP_1) | instskip(NEXT) | instid1(VALU_DEP_1)
	v_lshlrev_b64_e32 v[3:4], 2, v[3:4]
	v_add_co_u32 v3, vcc_lo, s4, v3
	s_wait_alu 0xfffd
	s_delay_alu instid0(VALU_DEP_2) | instskip(SKIP_2) | instid1(VALU_DEP_1)
	v_add_co_ci_u32_e64 v4, null, s5, v4, vcc_lo
	global_load_b32 v3, v[3:4], off
	v_mul_lo_u32 v4, 0xa0, v2
	v_add3_u32 v4, 0, v4, v5
	s_wait_loadcnt 0x0
	ds_store_b32 v4, v3
.LBB7_2:
	s_or_b32 exec_lo, exec_lo, s8
	s_delay_alu instid0(VALU_DEP_2) | instskip(SKIP_1) | instid1(VALU_DEP_1)
	v_or_b32_e32 v1, 0x80, v1
	s_mov_b32 s8, exec_lo
	v_mul_lo_u16 v3, 0xcd, v1
	s_delay_alu instid0(VALU_DEP_1) | instskip(NEXT) | instid1(VALU_DEP_1)
	v_lshrrev_b16 v3, 13, v3
	v_mul_lo_u16 v4, v3, 40
	v_and_b32_e32 v3, 0xffff, v3
	s_delay_alu instid0(VALU_DEP_2) | instskip(NEXT) | instid1(VALU_DEP_2)
	v_sub_nc_u16 v1, v1, v4
	v_add_nc_u32_e32 v2, v2, v3
	s_delay_alu instid0(VALU_DEP_2) | instskip(NEXT) | instid1(VALU_DEP_2)
	v_and_b32_e32 v1, 0xff, v1
	v_cmpx_gt_u32_e32 0x80, v2
	s_cbranch_execz .LBB7_4
; %bb.3:
	s_delay_alu instid0(VALU_DEP_2) | instskip(SKIP_1) | instid1(VALU_DEP_2)
	v_mad_co_u64_u32 v[3:4], null, v2, s6, v[1:2]
	v_lshlrev_b32_e32 v5, 2, v1
	v_ashrrev_i32_e32 v4, 31, v3
	s_delay_alu instid0(VALU_DEP_1) | instskip(NEXT) | instid1(VALU_DEP_1)
	v_lshlrev_b64_e32 v[3:4], 2, v[3:4]
	v_add_co_u32 v3, vcc_lo, s4, v3
	s_wait_alu 0xfffd
	s_delay_alu instid0(VALU_DEP_2) | instskip(SKIP_2) | instid1(VALU_DEP_1)
	v_add_co_ci_u32_e64 v4, null, s5, v4, vcc_lo
	global_load_b32 v3, v[3:4], off
	v_mul_lo_u32 v4, 0xa0, v2
	v_add3_u32 v4, 0, v4, v5
	s_wait_loadcnt 0x0
	ds_store_b32 v4, v3
.LBB7_4:
	s_or_b32 exec_lo, exec_lo, s8
	s_delay_alu instid0(VALU_DEP_2) | instskip(SKIP_1) | instid1(VALU_DEP_1)
	v_or_b32_e32 v1, 0x80, v1
	s_mov_b32 s8, exec_lo
	v_mul_lo_u16 v3, 0xcd, v1
	s_delay_alu instid0(VALU_DEP_1) | instskip(NEXT) | instid1(VALU_DEP_1)
	v_lshrrev_b16 v3, 13, v3
	v_mul_lo_u16 v4, v3, 40
	v_and_b32_e32 v3, 0xffff, v3
	s_delay_alu instid0(VALU_DEP_2) | instskip(NEXT) | instid1(VALU_DEP_2)
	v_sub_nc_u16 v1, v1, v4
	v_add_nc_u32_e32 v2, v2, v3
	s_delay_alu instid0(VALU_DEP_2) | instskip(NEXT) | instid1(VALU_DEP_2)
	;; [unrolled: 33-line block ×6, first 2 shown]
	v_and_b32_e32 v1, 0xff, v1
	v_cmpx_gt_u32_e32 0x80, v2
	s_cbranch_execz .LBB7_14
; %bb.13:
	s_delay_alu instid0(VALU_DEP_2) | instskip(SKIP_1) | instid1(VALU_DEP_2)
	v_mad_co_u64_u32 v[3:4], null, v2, s6, v[1:2]
	v_lshlrev_b32_e32 v5, 2, v1
	v_ashrrev_i32_e32 v4, 31, v3
	s_delay_alu instid0(VALU_DEP_1) | instskip(NEXT) | instid1(VALU_DEP_1)
	v_lshlrev_b64_e32 v[3:4], 2, v[3:4]
	v_add_co_u32 v3, vcc_lo, s4, v3
	s_wait_alu 0xfffd
	s_delay_alu instid0(VALU_DEP_2) | instskip(SKIP_2) | instid1(VALU_DEP_1)
	v_add_co_ci_u32_e64 v4, null, s5, v4, vcc_lo
	global_load_b32 v3, v[3:4], off
	v_mul_lo_u32 v4, 0xa0, v2
	v_add3_u32 v4, 0, v4, v5
	s_wait_loadcnt 0x0
	ds_store_b32 v4, v3
.LBB7_14:
	s_or_b32 exec_lo, exec_lo, s8
	s_delay_alu instid0(SALU_CYCLE_1)
	s_mov_b32 s8, exec_lo
	v_cmpx_gt_u32_e32 0x380, v0
	s_cbranch_execz .LBB7_35
; %bb.15:
	v_or_b32_e32 v1, 0x80, v1
	s_mov_b32 s9, exec_lo
	s_delay_alu instid0(VALU_DEP_1) | instskip(NEXT) | instid1(VALU_DEP_1)
	v_mul_lo_u16 v3, 0xcd, v1
	v_lshrrev_b16 v3, 13, v3
	s_delay_alu instid0(VALU_DEP_1) | instskip(SKIP_1) | instid1(VALU_DEP_2)
	v_mul_lo_u16 v4, v3, 40
	v_and_b32_e32 v3, 0xffff, v3
	v_sub_nc_u16 v1, v1, v4
	s_delay_alu instid0(VALU_DEP_2) | instskip(NEXT) | instid1(VALU_DEP_2)
	v_add_nc_u32_e32 v2, v2, v3
	v_and_b32_e32 v1, 0xff, v1
	s_delay_alu instid0(VALU_DEP_2)
	v_cmpx_gt_u32_e32 0x80, v2
	s_cbranch_execz .LBB7_17
; %bb.16:
	s_delay_alu instid0(VALU_DEP_2) | instskip(SKIP_1) | instid1(VALU_DEP_2)
	v_mad_co_u64_u32 v[3:4], null, v2, s6, v[1:2]
	v_lshlrev_b32_e32 v5, 2, v1
	v_ashrrev_i32_e32 v4, 31, v3
	s_delay_alu instid0(VALU_DEP_1) | instskip(NEXT) | instid1(VALU_DEP_1)
	v_lshlrev_b64_e32 v[3:4], 2, v[3:4]
	v_add_co_u32 v3, vcc_lo, s4, v3
	s_wait_alu 0xfffd
	s_delay_alu instid0(VALU_DEP_2) | instskip(SKIP_2) | instid1(VALU_DEP_1)
	v_add_co_ci_u32_e64 v4, null, s5, v4, vcc_lo
	global_load_b32 v3, v[3:4], off
	v_mul_lo_u32 v4, 0xa0, v2
	v_add3_u32 v4, 0, v4, v5
	s_wait_loadcnt 0x0
	ds_store_b32 v4, v3
.LBB7_17:
	s_or_b32 exec_lo, exec_lo, s9
	v_cmp_gt_u32_e32 vcc_lo, 0x300, v0
	s_and_b32 exec_lo, exec_lo, vcc_lo
	s_cbranch_execz .LBB7_35
; %bb.18:
	v_or_b32_e32 v1, 0x80, v1
	s_mov_b32 s9, exec_lo
	s_delay_alu instid0(VALU_DEP_1) | instskip(NEXT) | instid1(VALU_DEP_1)
	v_mul_lo_u16 v3, 0xcd, v1
	v_lshrrev_b16 v3, 13, v3
	s_delay_alu instid0(VALU_DEP_1) | instskip(SKIP_1) | instid1(VALU_DEP_2)
	v_mul_lo_u16 v4, v3, 40
	v_and_b32_e32 v3, 0xffff, v3
	v_sub_nc_u16 v1, v1, v4
	s_delay_alu instid0(VALU_DEP_2) | instskip(NEXT) | instid1(VALU_DEP_2)
	v_add_nc_u32_e32 v2, v2, v3
	v_and_b32_e32 v1, 0xff, v1
	s_delay_alu instid0(VALU_DEP_2)
	v_cmpx_gt_u32_e32 0x80, v2
	s_cbranch_execz .LBB7_20
; %bb.19:
	s_delay_alu instid0(VALU_DEP_2) | instskip(SKIP_1) | instid1(VALU_DEP_2)
	v_mad_co_u64_u32 v[3:4], null, v2, s6, v[1:2]
	v_lshlrev_b32_e32 v5, 2, v1
	v_ashrrev_i32_e32 v4, 31, v3
	s_delay_alu instid0(VALU_DEP_1) | instskip(NEXT) | instid1(VALU_DEP_1)
	v_lshlrev_b64_e32 v[3:4], 2, v[3:4]
	v_add_co_u32 v3, vcc_lo, s4, v3
	s_wait_alu 0xfffd
	s_delay_alu instid0(VALU_DEP_2) | instskip(SKIP_2) | instid1(VALU_DEP_1)
	v_add_co_ci_u32_e64 v4, null, s5, v4, vcc_lo
	global_load_b32 v3, v[3:4], off
	v_mul_lo_u32 v4, 0xa0, v2
	v_add3_u32 v4, 0, v4, v5
	s_wait_loadcnt 0x0
	ds_store_b32 v4, v3
.LBB7_20:
	s_or_b32 exec_lo, exec_lo, s9
	v_cmp_gt_u32_e32 vcc_lo, 0x280, v0
	s_and_b32 exec_lo, exec_lo, vcc_lo
	;; [unrolled: 37-line block ×6, first 2 shown]
	s_cbranch_execz .LBB7_35
; %bb.33:
	v_or_b32_e32 v3, 0x80, v1
	s_delay_alu instid0(VALU_DEP_1) | instskip(NEXT) | instid1(VALU_DEP_1)
	v_mul_lo_u16 v1, 0xcd, v3
	v_lshrrev_b16 v4, 13, v1
	s_delay_alu instid0(VALU_DEP_1) | instskip(NEXT) | instid1(VALU_DEP_1)
	v_and_b32_e32 v1, 0xffff, v4
	v_add_nc_u32_e32 v1, v2, v1
	s_delay_alu instid0(VALU_DEP_1)
	v_cmp_gt_u32_e32 vcc_lo, 0x80, v1
	s_and_b32 exec_lo, exec_lo, vcc_lo
	s_cbranch_execz .LBB7_35
; %bb.34:
	v_mul_lo_u16 v2, v4, 40
	s_delay_alu instid0(VALU_DEP_1) | instskip(NEXT) | instid1(VALU_DEP_1)
	v_sub_nc_u16 v2, v3, v2
	v_and_b32_e32 v2, 0xff, v2
	s_delay_alu instid0(VALU_DEP_1) | instskip(SKIP_2) | instid1(VALU_DEP_3)
	v_mad_co_u64_u32 v[3:4], null, v1, s6, v[2:3]
	v_mul_lo_u32 v1, 0xa0, v1
	v_lshlrev_b32_e32 v2, 2, v2
	v_ashrrev_i32_e32 v4, 31, v3
	s_delay_alu instid0(VALU_DEP_2) | instskip(NEXT) | instid1(VALU_DEP_2)
	v_add3_u32 v1, 0, v1, v2
	v_lshlrev_b64_e32 v[3:4], 2, v[3:4]
	s_delay_alu instid0(VALU_DEP_1) | instskip(SKIP_1) | instid1(VALU_DEP_2)
	v_add_co_u32 v3, vcc_lo, s4, v3
	s_wait_alu 0xfffd
	v_add_co_ci_u32_e64 v4, null, s5, v4, vcc_lo
	global_load_b32 v3, v[3:4], off
	s_wait_loadcnt 0x0
	ds_store_b32 v1, v3
.LBB7_35:
	s_or_b32 exec_lo, exec_lo, s8
	s_clause 0x1
	s_load_b128 s[8:11], s[0:1], 0x8
	s_load_b64 s[4:5], s[0:1], 0x28
	s_ashr_i32 s6, s7, 2
	s_ashr_i32 s15, s7, 31
	s_wait_alu 0xfffe
	v_mul_lo_u32 v1, s6, v0
	s_mov_b32 s14, s7
	s_wait_dscnt 0x0
	s_mul_u64 s[6:7], s[2:3], s[14:15]
	s_barrier_signal -1
	s_barrier_wait -1
	global_inv scope:SCOPE_SE
	v_lshlrev_b32_e32 v10, 2, v0
	v_ashrrev_i32_e32 v2, 31, v1
	s_delay_alu instid0(VALU_DEP_1)
	v_lshlrev_b64_e32 v[1:2], 2, v[1:2]
	s_wait_kmcnt 0x0
	s_wait_alu 0xfffe
	s_add_nc_u64 s[6:7], s[8:9], s[6:7]
	s_cmp_eq_u64 s[10:11], 0
	s_wait_alu 0xfffe
	v_add_co_u32 v5, vcc_lo, s6, v1
	s_wait_alu 0xfffd
	v_add_co_ci_u32_e64 v6, null, s7, v2, vcc_lo
	s_clause 0x2
	global_load_b32 v13, v[5:6], off offset:32
	global_load_b128 v[1:4], v[5:6], off offset:16
	global_load_b128 v[5:8], v[5:6], off
	s_cbranch_scc1 .LBB7_37
; %bb.36:
	s_lshl_b32 s6, s2, 2
	s_mov_b32 s7, 0
	s_wait_alu 0xfffe
	s_add_nc_u64 s[6:7], s[10:11], s[6:7]
	global_load_b32 v14, v10, s[6:7]
	s_branch .LBB7_38
.LBB7_37:
	v_mov_b32_e32 v14, 0
.LBB7_38:
	s_load_b64 s[6:7], s[0:1], 0x40
	s_wait_kmcnt 0x0
	s_sub_nc_u64 s[6:7], s[6:7], s[12:13]
	s_wait_alu 0xfffe
	v_cmp_lt_i64_e64 s8, s[6:7], 1
	s_and_b32 vcc_lo, exec_lo, s8
	s_wait_alu 0xfffe
	s_cbranch_vccnz .LBB7_41
; %bb.39:
	s_load_b96 s[8:10], s[0:1], 0x30
	v_mad_u32_u24 v0, 0xa0, v0, 0
	v_cmp_lt_u64_e64 s16, s[6:7], 32
	ds_load_b32 v9, v0
	s_wait_kmcnt 0x0
	s_mul_i32 s0, s10, ttmp9
	s_ashr_i32 s11, s9, 31
	s_mov_b32 s10, s9
	s_ashr_i32 s15, s8, 31
	s_mov_b32 s14, s8
	s_mul_u64 s[10:11], s[12:13], s[10:11]
	s_mul_u64 s[2:3], s[2:3], s[14:15]
	s_ashr_i32 s1, s0, 31
	s_add_nc_u64 s[2:3], s[2:3], s[10:11]
	s_add_nc_u64 s[0:1], s[4:5], s[0:1]
	s_ashr_i32 s8, s9, 2
	s_add_nc_u64 s[0:1], s[0:1], s[2:3]
	s_ashr_i32 s9, s8, 31
	v_add_co_u32 v11, s0, s0, v10
	s_wait_alu 0xf1ff
	v_add_co_ci_u32_e64 v12, null, s1, 0, s0
	s_and_b32 s4, s16, exec_lo
	s_cselect_b32 s1, s7, 0
	s_cselect_b32 s0, s6, 32
	s_lshl_b64 s[2:3], s[8:9], 2
.LBB7_40:                               ; =>This Inner Loop Header: Depth=1
	s_wait_loadcnt_dscnt 0x0
	v_fma_f32 v21, v5, v9, 0
	ds_load_2addr_b32 v[9:10], v0 offset0:1 offset1:2
	ds_load_2addr_b32 v[15:16], v0 offset0:3 offset1:4
	ds_load_2addr_b32 v[17:18], v0 offset0:5 offset1:6
	ds_load_2addr_b32 v[19:20], v0 offset0:7 offset1:8
	s_wait_alu 0xfffe
	s_add_nc_u64 s[0:1], s[0:1], -1
	v_add_nc_u32_e32 v0, 4, v0
	s_wait_alu 0xfffe
	s_cmp_lg_u64 s[0:1], 0
	s_wait_dscnt 0x3
	v_fmac_f32_e32 v21, v6, v9
	s_delay_alu instid0(VALU_DEP_1) | instskip(SKIP_1) | instid1(VALU_DEP_1)
	v_fmac_f32_e32 v21, v7, v10
	s_wait_dscnt 0x2
	v_fmac_f32_e32 v21, v8, v15
	s_delay_alu instid0(VALU_DEP_1) | instskip(SKIP_1) | instid1(VALU_DEP_1)
	v_fmac_f32_e32 v21, v1, v16
	;; [unrolled: 4-line block ×3, first 2 shown]
	s_wait_dscnt 0x0
	v_fmac_f32_e32 v21, v4, v19
	s_delay_alu instid0(VALU_DEP_1) | instskip(NEXT) | instid1(VALU_DEP_1)
	v_fmac_f32_e32 v21, v13, v20
	v_add_f32_e32 v10, v14, v21
	s_delay_alu instid0(VALU_DEP_1) | instskip(NEXT) | instid1(VALU_DEP_1)
	v_mul_f32_e32 v15, 0xbfb8aa3b, v10
	v_fma_f32 v16, 0xbfb8aa3b, v10, -v15
	v_rndne_f32_e32 v17, v15
	s_delay_alu instid0(VALU_DEP_1) | instskip(NEXT) | instid1(VALU_DEP_1)
	v_dual_fmac_f32 v16, 0xb2a5705f, v10 :: v_dual_sub_f32 v15, v15, v17
	v_add_f32_e32 v15, v15, v16
	v_cvt_i32_f32_e32 v16, v17
	v_cmp_nlt_f32_e32 vcc_lo, 0x42ce8ed0, v10
	s_delay_alu instid0(VALU_DEP_3) | instskip(NEXT) | instid1(TRANS32_DEP_1)
	v_exp_f32_e32 v15, v15
	v_ldexp_f32 v15, v15, v16
	s_wait_alu 0xfffd
	s_delay_alu instid0(VALU_DEP_1) | instskip(SKIP_2) | instid1(VALU_DEP_2)
	v_cndmask_b32_e32 v15, 0, v15, vcc_lo
	v_cmp_ngt_f32_e32 vcc_lo, 0xc2b17218, v10
	s_wait_alu 0xfffd
	v_cndmask_b32_e32 v15, 0x7f800000, v15, vcc_lo
	s_delay_alu instid0(VALU_DEP_1) | instskip(NEXT) | instid1(VALU_DEP_1)
	v_add_f32_e32 v15, 1.0, v15
	v_div_scale_f32 v16, null, v15, v15, v10
	v_div_scale_f32 v18, vcc_lo, v10, v15, v10
	s_delay_alu instid0(VALU_DEP_2) | instskip(NEXT) | instid1(TRANS32_DEP_1)
	v_rcp_f32_e32 v17, v16
	v_fma_f32 v19, -v16, v17, 1.0
	s_delay_alu instid0(VALU_DEP_1) | instskip(NEXT) | instid1(VALU_DEP_1)
	v_fmac_f32_e32 v17, v19, v17
	v_mul_f32_e32 v19, v18, v17
	s_delay_alu instid0(VALU_DEP_1) | instskip(NEXT) | instid1(VALU_DEP_1)
	v_fma_f32 v20, -v16, v19, v18
	v_fmac_f32_e32 v19, v20, v17
	s_delay_alu instid0(VALU_DEP_1) | instskip(SKIP_1) | instid1(VALU_DEP_1)
	v_fma_f32 v16, -v16, v19, v18
	s_wait_alu 0xfffd
	v_div_fmas_f32 v16, v16, v17, v19
	s_delay_alu instid0(VALU_DEP_1)
	v_div_fixup_f32 v10, v16, v15, v10
	global_store_b32 v[11:12], v10, off
	v_add_co_u32 v11, vcc_lo, v11, s2
	s_wait_alu 0xfffd
	v_add_co_ci_u32_e64 v12, null, s3, v12, vcc_lo
	s_cbranch_scc1 .LBB7_40
.LBB7_41:
	s_endpgm
	.section	.rodata,"a",@progbits
	.p2align	6, 0x0
	.amdhsa_kernel _ZL23ssm_conv_long_token_f32ILb1ELm128ELm9ELl32EEvPKfS1_S1_iiiiPfiiil
		.amdhsa_group_segment_fixed_size 0
		.amdhsa_private_segment_fixed_size 0
		.amdhsa_kernarg_size 72
		.amdhsa_user_sgpr_count 2
		.amdhsa_user_sgpr_dispatch_ptr 0
		.amdhsa_user_sgpr_queue_ptr 0
		.amdhsa_user_sgpr_kernarg_segment_ptr 1
		.amdhsa_user_sgpr_dispatch_id 0
		.amdhsa_user_sgpr_private_segment_size 0
		.amdhsa_wavefront_size32 1
		.amdhsa_uses_dynamic_stack 0
		.amdhsa_enable_private_segment 0
		.amdhsa_system_sgpr_workgroup_id_x 1
		.amdhsa_system_sgpr_workgroup_id_y 1
		.amdhsa_system_sgpr_workgroup_id_z 1
		.amdhsa_system_sgpr_workgroup_info 0
		.amdhsa_system_vgpr_workitem_id 0
		.amdhsa_next_free_vgpr 88
		.amdhsa_next_free_sgpr 18
		.amdhsa_reserve_vcc 1
		.amdhsa_float_round_mode_32 0
		.amdhsa_float_round_mode_16_64 0
		.amdhsa_float_denorm_mode_32 3
		.amdhsa_float_denorm_mode_16_64 3
		.amdhsa_fp16_overflow 0
		.amdhsa_workgroup_processor_mode 1
		.amdhsa_memory_ordered 1
		.amdhsa_forward_progress 1
		.amdhsa_inst_pref_size 62
		.amdhsa_round_robin_scheduling 0
		.amdhsa_exception_fp_ieee_invalid_op 0
		.amdhsa_exception_fp_denorm_src 0
		.amdhsa_exception_fp_ieee_div_zero 0
		.amdhsa_exception_fp_ieee_overflow 0
		.amdhsa_exception_fp_ieee_underflow 0
		.amdhsa_exception_fp_ieee_inexact 0
		.amdhsa_exception_int_div_zero 0
	.end_amdhsa_kernel
	.section	.text._ZL23ssm_conv_long_token_f32ILb1ELm128ELm9ELl32EEvPKfS1_S1_iiiiPfiiil,"axG",@progbits,_ZL23ssm_conv_long_token_f32ILb1ELm128ELm9ELl32EEvPKfS1_S1_iiiiPfiiil,comdat
.Lfunc_end7:
	.size	_ZL23ssm_conv_long_token_f32ILb1ELm128ELm9ELl32EEvPKfS1_S1_iiiiPfiiil, .Lfunc_end7-_ZL23ssm_conv_long_token_f32ILb1ELm128ELm9ELl32EEvPKfS1_S1_iiiiPfiiil
                                        ; -- End function
	.set _ZL23ssm_conv_long_token_f32ILb1ELm128ELm9ELl32EEvPKfS1_S1_iiiiPfiiil.num_vgpr, 88
	.set _ZL23ssm_conv_long_token_f32ILb1ELm128ELm9ELl32EEvPKfS1_S1_iiiiPfiiil.num_agpr, 0
	.set _ZL23ssm_conv_long_token_f32ILb1ELm128ELm9ELl32EEvPKfS1_S1_iiiiPfiiil.numbered_sgpr, 18
	.set _ZL23ssm_conv_long_token_f32ILb1ELm128ELm9ELl32EEvPKfS1_S1_iiiiPfiiil.num_named_barrier, 0
	.set _ZL23ssm_conv_long_token_f32ILb1ELm128ELm9ELl32EEvPKfS1_S1_iiiiPfiiil.private_seg_size, 0
	.set _ZL23ssm_conv_long_token_f32ILb1ELm128ELm9ELl32EEvPKfS1_S1_iiiiPfiiil.uses_vcc, 1
	.set _ZL23ssm_conv_long_token_f32ILb1ELm128ELm9ELl32EEvPKfS1_S1_iiiiPfiiil.uses_flat_scratch, 0
	.set _ZL23ssm_conv_long_token_f32ILb1ELm128ELm9ELl32EEvPKfS1_S1_iiiiPfiiil.has_dyn_sized_stack, 0
	.set _ZL23ssm_conv_long_token_f32ILb1ELm128ELm9ELl32EEvPKfS1_S1_iiiiPfiiil.has_recursion, 0
	.set _ZL23ssm_conv_long_token_f32ILb1ELm128ELm9ELl32EEvPKfS1_S1_iiiiPfiiil.has_indirect_call, 0
	.section	.AMDGPU.csdata,"",@progbits
; Kernel info:
; codeLenInByte = 7872
; TotalNumSgprs: 20
; NumVgprs: 88
; ScratchSize: 0
; MemoryBound: 0
; FloatMode: 240
; IeeeMode: 1
; LDSByteSize: 0 bytes/workgroup (compile time only)
; SGPRBlocks: 0
; VGPRBlocks: 10
; NumSGPRsForWavesPerEU: 20
; NumVGPRsForWavesPerEU: 88
; Occupancy: 16
; WaveLimiterHint : 0
; COMPUTE_PGM_RSRC2:SCRATCH_EN: 0
; COMPUTE_PGM_RSRC2:USER_SGPR: 2
; COMPUTE_PGM_RSRC2:TRAP_HANDLER: 0
; COMPUTE_PGM_RSRC2:TGID_X_EN: 1
; COMPUTE_PGM_RSRC2:TGID_Y_EN: 1
; COMPUTE_PGM_RSRC2:TGID_Z_EN: 1
; COMPUTE_PGM_RSRC2:TIDIG_COMP_CNT: 0
	.section	.text._ZL12ssm_conv_f32ILb1ELm128ELm15EEvPKfS1_S1_iiiiPfiiil,"axG",@progbits,_ZL12ssm_conv_f32ILb1ELm128ELm15EEvPKfS1_S1_iiiiPfiiil,comdat
	.globl	_ZL12ssm_conv_f32ILb1ELm128ELm15EEvPKfS1_S1_iiiiPfiiil ; -- Begin function _ZL12ssm_conv_f32ILb1ELm128ELm15EEvPKfS1_S1_iiiiPfiiil
	.p2align	8
	.type	_ZL12ssm_conv_f32ILb1ELm128ELm15EEvPKfS1_S1_iiiiPfiiil,@function
_ZL12ssm_conv_f32ILb1ELm128ELm15EEvPKfS1_S1_iiiiPfiiil: ; @_ZL12ssm_conv_f32ILb1ELm128ELm15EEvPKfS1_S1_iiiiPfiiil
; %bb.0:
	s_load_b64 s[2:3], s[0:1], 0x10
	s_mov_b32 s4, ttmp7
	s_ashr_i32 s5, ttmp7, 31
	v_lshlrev_b32_e32 v15, 2, v0
	s_lshl_b64 s[12:13], s[4:5], 7
	s_wait_kmcnt 0x0
	s_cmp_eq_u64 s[2:3], 0
	s_cbranch_scc1 .LBB8_2
; %bb.1:
	s_lshl_b64 s[4:5], s[12:13], 2
	s_delay_alu instid0(SALU_CYCLE_1)
	s_add_nc_u64 s[2:3], s[2:3], s[4:5]
	global_load_b32 v35, v15, s[2:3]
	s_load_b64 s[2:3], s[0:1], 0x40
	s_wait_kmcnt 0x0
	v_cmp_lt_i64_e64 s4, s[2:3], 1
	s_and_b32 vcc_lo, exec_lo, s4
	s_cbranch_vccz .LBB8_3
	s_branch .LBB8_6
.LBB8_2:
	v_mov_b32_e32 v35, 0
	s_load_b64 s[2:3], s[0:1], 0x40
	s_wait_kmcnt 0x0
	v_cmp_lt_i64_e64 s4, s[2:3], 1
	s_and_b32 vcc_lo, exec_lo, s4
	s_cbranch_vccnz .LBB8_6
.LBB8_3:
	s_clause 0x1
	s_load_b96 s[8:10], s[0:1], 0x1c
	s_load_b128 s[4:7], s[0:1], 0x0
	s_wait_kmcnt 0x0
	s_ashr_i32 s11, s8, 2
	s_ashr_i32 s14, s10, 2
	v_mul_lo_u32 v1, s11, v0
	v_mul_lo_u32 v3, s14, v0
	s_mul_i32 s14, s9, ttmp9
	s_ashr_i32 s9, s8, 31
	s_wait_alu 0xfffe
	s_ashr_i32 s15, s14, 31
	s_ashr_i32 s11, s10, 31
	s_mul_u64 s[8:9], s[12:13], s[8:9]
	s_wait_alu 0xfffe
	s_add_nc_u64 s[4:5], s[4:5], s[14:15]
	v_ashrrev_i32_e32 v2, 31, v1
	v_ashrrev_i32_e32 v4, 31, v3
	s_mul_u64 s[10:11], s[12:13], s[10:11]
	s_add_nc_u64 s[4:5], s[4:5], s[8:9]
	s_wait_alu 0xfffe
	s_add_nc_u64 s[6:7], s[6:7], s[10:11]
	v_lshlrev_b64_e32 v[0:1], 2, v[1:2]
	v_lshlrev_b64_e32 v[2:3], 2, v[3:4]
	s_delay_alu instid0(VALU_DEP_2) | instskip(NEXT) | instid1(VALU_DEP_1)
	v_add_co_u32 v31, vcc_lo, s4, v0
	v_add_co_ci_u32_e64 v32, null, s5, v1, vcc_lo
	s_delay_alu instid0(VALU_DEP_3) | instskip(SKIP_1) | instid1(VALU_DEP_4)
	v_add_co_u32 v12, vcc_lo, s6, v2
	s_wait_alu 0xfffd
	v_add_co_ci_u32_e64 v13, null, s7, v3, vcc_lo
	global_load_b128 v[0:3], v[31:32], off
	s_clause 0x1
	global_load_b128 v[16:19], v[12:13], off
	global_load_b128 v[20:23], v[12:13], off offset:16
	s_clause 0x1
	global_load_b128 v[4:7], v[31:32], off offset:16
	global_load_b128 v[8:11], v[31:32], off offset:32
	s_clause 0x1
	global_load_b128 v[24:27], v[12:13], off offset:32
	global_load_b96 v[28:30], v[12:13], off offset:48
	global_load_b96 v[12:14], v[31:32], off offset:48
	s_clause 0x1
	s_load_b96 s[4:6], s[0:1], 0x30
	s_load_b64 s[0:1], s[0:1], 0x28
	s_wait_kmcnt 0x0
	s_mul_i32 s6, s6, ttmp9
	s_ashr_i32 s9, s4, 31
	s_wait_alu 0xfffe
	s_ashr_i32 s7, s6, 31
	s_mov_b32 s8, s4
	s_wait_alu 0xfffe
	s_add_nc_u64 s[6:7], s[0:1], s[6:7]
	s_mul_u64 s[8:9], s[12:13], s[8:9]
	s_cmp_eq_u64 s[2:3], 1
	s_wait_alu 0xfffe
	s_add_nc_u64 s[0:1], s[6:7], s[8:9]
	s_wait_loadcnt 0x6
	v_fma_f32 v33, v16, v0, 0
	s_delay_alu instid0(VALU_DEP_1) | instskip(NEXT) | instid1(VALU_DEP_1)
	v_fmac_f32_e32 v33, v17, v1
	v_fmac_f32_e32 v33, v18, v2
	s_delay_alu instid0(VALU_DEP_1) | instskip(SKIP_1) | instid1(VALU_DEP_1)
	v_fmac_f32_e32 v33, v19, v3
	s_wait_loadcnt 0x4
	v_fmac_f32_e32 v33, v20, v4
	s_delay_alu instid0(VALU_DEP_1) | instskip(NEXT) | instid1(VALU_DEP_1)
	v_fmac_f32_e32 v33, v21, v5
	v_fmac_f32_e32 v33, v22, v6
	s_delay_alu instid0(VALU_DEP_1) | instskip(SKIP_1) | instid1(VALU_DEP_1)
	v_fmac_f32_e32 v33, v23, v7
	s_wait_loadcnt 0x2
	v_fmac_f32_e32 v33, v24, v8
	;; [unrolled: 7-line block ×3, first 2 shown]
	s_delay_alu instid0(VALU_DEP_1) | instskip(NEXT) | instid1(VALU_DEP_1)
	v_fmac_f32_e32 v33, v29, v13
	v_fmac_f32_e32 v33, v30, v14
	s_delay_alu instid0(VALU_DEP_1) | instskip(NEXT) | instid1(VALU_DEP_1)
	v_add_f32_e32 v33, v35, v33
	v_mul_f32_e32 v34, 0xbfb8aa3b, v33
	v_cmp_nlt_f32_e32 vcc_lo, 0x42ce8ed0, v33
	s_delay_alu instid0(VALU_DEP_2) | instskip(SKIP_1) | instid1(VALU_DEP_2)
	v_fma_f32 v36, 0xbfb8aa3b, v33, -v34
	v_rndne_f32_e32 v37, v34
	v_fmac_f32_e32 v36, 0xb2a5705f, v33
	s_delay_alu instid0(VALU_DEP_2) | instskip(NEXT) | instid1(VALU_DEP_1)
	v_sub_f32_e32 v34, v34, v37
	v_add_f32_e32 v34, v34, v36
	v_cvt_i32_f32_e32 v36, v37
	s_delay_alu instid0(VALU_DEP_2) | instskip(NEXT) | instid1(TRANS32_DEP_1)
	v_exp_f32_e32 v34, v34
	v_ldexp_f32 v34, v34, v36
	s_wait_alu 0xfffd
	s_delay_alu instid0(VALU_DEP_1) | instskip(SKIP_2) | instid1(VALU_DEP_2)
	v_cndmask_b32_e32 v34, 0, v34, vcc_lo
	v_cmp_ngt_f32_e32 vcc_lo, 0xc2b17218, v33
	s_wait_alu 0xfffd
	v_cndmask_b32_e32 v34, 0x7f800000, v34, vcc_lo
	s_delay_alu instid0(VALU_DEP_1) | instskip(NEXT) | instid1(VALU_DEP_1)
	v_add_f32_e32 v34, 1.0, v34
	v_div_scale_f32 v36, null, v34, v34, v33
	s_delay_alu instid0(VALU_DEP_1) | instskip(NEXT) | instid1(TRANS32_DEP_1)
	v_rcp_f32_e32 v37, v36
	v_fma_f32 v38, -v36, v37, 1.0
	s_delay_alu instid0(VALU_DEP_1) | instskip(SKIP_1) | instid1(VALU_DEP_1)
	v_fmac_f32_e32 v37, v38, v37
	v_div_scale_f32 v38, vcc_lo, v33, v34, v33
	v_mul_f32_e32 v39, v38, v37
	s_delay_alu instid0(VALU_DEP_1) | instskip(NEXT) | instid1(VALU_DEP_1)
	v_fma_f32 v40, -v36, v39, v38
	v_fmac_f32_e32 v39, v40, v37
	s_delay_alu instid0(VALU_DEP_1) | instskip(SKIP_1) | instid1(VALU_DEP_1)
	v_fma_f32 v36, -v36, v39, v38
	s_wait_alu 0xfffd
	v_div_fmas_f32 v36, v36, v37, v39
	s_delay_alu instid0(VALU_DEP_1)
	v_div_fixup_f32 v33, v36, v34, v33
	global_store_b32 v15, v33, s[0:1]
	s_cbranch_scc1 .LBB8_6
; %bb.4:
	s_ashr_i32 s0, s5, 2
	v_add_co_u32 v31, vcc_lo, v31, 60
	s_ashr_i32 s1, s0, 31
	s_wait_alu 0xfffd
	v_add_co_ci_u32_e64 v32, null, 0, v32, vcc_lo
	s_lshl_b64 s[0:1], s[0:1], 2
	s_add_nc_u64 s[2:3], s[2:3], -1
	s_add_nc_u64 s[4:5], s[8:9], s[0:1]
	s_mov_b64 s[8:9], 15
	s_wait_alu 0xfffe
	s_add_nc_u64 s[4:5], s[6:7], s[4:5]
	s_mov_b64 s[6:7], 0
	s_wait_alu 0xfffe
	v_add_co_u32 v33, s4, s4, v15
	s_wait_alu 0xf1ff
	v_add_co_ci_u32_e64 v34, null, s5, 0, s4
	s_mov_b64 s[4:5], 1
	s_mov_b64 s[10:11], 14
	;; [unrolled: 1-line block ×16, first 2 shown]
	s_mov_b32 s43, 0
.LBB8_5:                                ; =>This Inner Loop Header: Depth=1
	global_load_b32 v15, v[31:32], off
	s_wait_alu 0xfffe
	s_mov_b32 s48, s4
	s_mov_b32 s49, s43
	;; [unrolled: 1-line block ×12, first 2 shown]
	s_mul_u64 s[96:97], s[48:49], s[30:31]
	s_mul_u64 s[98:99], s[62:63], s[30:31]
	;; [unrolled: 1-line block ×3, first 2 shown]
	s_mov_b32 s42, s5
	s_mov_b32 s86, s18
	;; [unrolled: 1-line block ×4, first 2 shown]
	s_mul_u64 s[96:97], s[78:79], s[30:31]
	s_mov_b32 s70, s99
	s_mul_u64 s[98:99], s[80:81], s[30:31]
	s_mov_b32 s82, s101
	;; [unrolled: 2-line block ×3, first 2 shown]
	s_mov_b32 s88, s97
	s_mul_u64 s[96:97], s[86:87], s[30:31]
	s_mov_b32 s90, s99
	s_mul_u64 s[98:99], s[42:43], s[30:31]
	;; [unrolled: 2-line block ×3, first 2 shown]
	s_mov_b32 s42, s9
	s_mov_b32 s71, s43
	;; [unrolled: 1-line block ×3, first 2 shown]
	s_mul_u64 s[96:97], s[42:43], s[30:31]
	s_add_nc_u64 s[98:99], s[98:99], s[52:53]
	s_mul_u64 s[102:103], s[42:43], s[34:35]
	s_mov_b32 s42, s11
	s_mov_b32 s83, s43
	s_add_nc_u64 s[70:71], s[96:97], s[70:71]
	s_mul_u64 s[52:53], s[42:43], s[30:31]
	s_mul_u64 s[48:49], s[48:49], s[34:35]
	s_mov_b32 s44, s99
	s_mov_b32 s99, s43
	v_add_co_u32 v31, vcc_lo, v31, 4
	s_add_nc_u64 s[82:83], s[52:53], s[82:83]
	s_mul_u64 s[62:63], s[62:63], s[34:35]
	s_add_nc_u64 s[48:49], s[48:49], s[98:99]
	s_mul_u64 s[96:97], s[42:43], s[34:35]
	s_mov_b32 s42, s13
	s_mov_b32 s50, s71
	;; [unrolled: 1-line block ×4, first 2 shown]
	s_wait_alu 0xfffd
	v_add_co_ci_u32_e64 v32, null, 0, v32, vcc_lo
	s_add_nc_u64 s[70:71], s[62:63], s[70:71]
	s_mul_u64 s[62:63], s[42:43], s[30:31]
	s_mov_b32 s46, s49
	s_mul_u64 s[48:49], s[72:73], s[34:35]
	s_mul_u64 vcc, s[42:43], s[34:35]
	s_mov_b32 s42, s15
	s_mov_b32 s56, s83
	;; [unrolled: 1-line block ×8, first 2 shown]
	s_add_nc_u64 s[88:89], s[62:63], s[88:89]
	s_mov_b32 s54, s71
	s_add_nc_u64 s[48:49], s[48:49], s[82:83]
	s_mul_u64 s[70:71], s[42:43], s[30:31]
	s_mov_b32 s57, s43
	s_mov_b32 s59, s43
	s_add_nc_u64 s[82:83], s[70:71], s[90:91]
	s_add_nc_u64 s[44:45], s[44:45], s[46:47]
	;; [unrolled: 1-line block ×3, first 2 shown]
	s_mul_u64 s[50:51], s[78:79], s[34:35]
	s_mov_b32 s58, s49
	s_mul_u64 s[78:79], s[42:43], s[34:35]
	s_mov_b32 s42, s17
	s_mov_b32 s60, s89
	s_mov_b32 s89, s43
	s_mov_b32 s93, s43
	s_add_nc_u64 s[50:51], s[50:51], s[88:89]
	s_mul_u64 s[48:49], s[42:43], s[30:31]
	s_add_nc_u64 s[56:57], s[56:57], s[58:59]
	s_mul_u64 s[58:59], s[80:81], s[34:35]
	s_mul_u64 s[80:81], s[42:43], s[34:35]
	s_mov_b32 s42, s19
	s_mov_b32 s64, s83
	;; [unrolled: 1-line block ×6, first 2 shown]
	s_add_nc_u64 s[88:89], s[48:49], s[92:93]
	s_mov_b32 s66, s51
	s_add_nc_u64 s[50:51], s[58:59], s[82:83]
	s_mul_u64 s[58:59], s[42:43], s[30:31]
	s_mov_b32 s98, s20
	s_add_nc_u64 s[44:45], s[100:101], s[44:45]
	s_add_nc_u64 s[82:83], s[58:59], s[94:95]
	s_add_nc_u64 s[58:59], s[60:61], s[66:67]
	s_mul_u64 s[60:61], s[84:85], s[34:35]
	s_mov_b32 s74, s89
	s_mov_b32 s89, s43
	s_mul_u64 s[70:71], s[98:99], s[30:31]
	s_mov_b32 s68, s51
	s_mul_u64 s[66:67], s[42:43], s[34:35]
	s_mov_b32 s42, s21
	s_add_nc_u64 s[50:51], s[60:61], s[88:89]
	s_lshr_b64 s[44:45], s[44:45], 3
	s_mov_b32 s88, s26
	s_mov_b32 s65, s43
	s_mov_b32 s69, s43
	s_mov_b32 s90, s71
	s_add_nc_u64 s[46:47], s[102:103], s[46:47]
	s_mul_u64 s[60:61], s[42:43], s[30:31]
	s_mul_i32 s33, s44, 15
	s_mul_u64 s[44:45], s[88:89], s[30:31]
	s_mov_b32 s75, s43
	s_mov_b32 s77, s43
	;; [unrolled: 1-line block ×3, first 2 shown]
	s_add_nc_u64 s[60:61], s[60:61], s[90:91]
	s_lshr_b64 s[46:47], s[46:47], 3
	s_mov_b32 s90, s45
	s_add_nc_u64 s[44:45], s[64:65], s[68:69]
	s_mul_u64 s[64:65], s[86:87], s[34:35]
	s_mov_b32 s76, s51
	s_mov_b32 s86, s28
	s_mul_u64 s[48:49], s[92:93], s[30:31]
	s_mul_i32 s104, s46, 15
	s_wait_alu 0xfffe
	s_add_nc_u64 s[46:47], vcc, s[58:59]
	s_mul_u64 s[68:69], s[42:43], s[34:35]
	s_mov_b32 s42, s23
	s_mov_b32 s52, s83
	;; [unrolled: 1-line block ×3, first 2 shown]
	s_add_nc_u64 s[78:79], s[78:79], s[44:45]
	s_add_nc_u64 s[74:75], s[74:75], s[76:77]
	s_mul_u64 s[44:45], s[86:87], s[30:31]
	s_mov_b32 s100, s49
	s_mov_b32 s101, s43
	s_add_nc_u64 s[96:97], s[96:97], s[56:57]
	s_add_nc_u64 s[50:51], s[64:65], s[82:83]
	s_mul_u64 s[64:65], s[42:43], s[30:31]
	s_mov_b32 s76, s45
	s_mul_u64 s[44:45], s[98:99], s[34:35]
	s_mov_b32 s70, s61
	s_mov_b32 s61, s43
	s_lshr_b64 s[46:47], s[46:47], 3
	s_add_nc_u64 s[74:75], s[80:81], s[74:75]
	s_mov_b32 s80, s36
	s_mov_b32 s81, s43
	s_mov_b32 s53, s43
	s_mov_b32 s63, s43
	s_add_nc_u64 s[64:65], s[64:65], s[100:101]
	s_mov_b32 s62, s51
	s_mul_u64 s[98:99], s[42:43], s[34:35]
	s_mov_b32 s42, s25
	s_add_nc_u64 s[60:61], s[44:45], s[60:61]
	s_lshr_b64 s[50:51], s[96:97], 3
	s_mul_i32 s96, s46, 15
	s_mul_u64 s[46:47], s[80:81], s[30:31]
	s_mul_u64 s[44:45], s[42:43], s[30:31]
	s_add_nc_u64 s[52:53], s[52:53], s[62:63]
	s_mov_b32 s62, s47
	s_mul_u64 s[46:47], s[92:93], s[34:35]
	s_mov_b32 s72, s61
	s_mul_u64 s[60:61], s[42:43], s[34:35]
	s_mov_b32 s42, s27
	s_mov_b32 s48, s65
	;; [unrolled: 1-line block ×4, first 2 shown]
	s_add_nc_u64 s[64:65], s[46:47], s[64:65]
	s_mul_u64 s[46:47], s[42:43], s[30:31]
	s_mov_b32 s54, s65
	s_add_nc_u64 s[90:91], s[46:47], s[90:91]
	s_mul_u64 s[64:65], s[42:43], s[34:35]
	s_mov_b32 s42, s29
	s_lshr_b64 s[78:79], s[78:79], 3
	s_mov_b32 s71, s43
	s_mul_u64 s[56:57], s[94:95], s[30:31]
	s_add_nc_u64 s[66:67], s[66:67], s[52:53]
	s_mul_u64 s[92:93], s[94:95], s[34:35]
	s_mul_u64 s[94:95], s[42:43], s[30:31]
	s_mul_i32 s52, s78, 15
	s_mul_u64 s[78:79], s[88:89], s[34:35]
	s_mov_b32 s58, s91
	s_mov_b32 s91, s43
	;; [unrolled: 1-line block ×4, first 2 shown]
	s_add_nc_u64 s[70:71], s[70:71], s[72:73]
	s_mov_b32 s72, s38
	s_add_nc_u64 s[76:77], s[94:95], s[76:77]
	s_mul_u64 s[88:89], s[42:43], s[34:35]
	s_mov_b32 s42, s37
	s_add_nc_u64 s[78:79], s[78:79], s[90:91]
	s_add_nc_u64 s[100:101], s[44:45], s[102:103]
	s_mul_u64 s[94:95], s[72:73], s[30:31]
	s_mul_u64 s[90:91], s[42:43], s[30:31]
	;; [unrolled: 1-line block ×3, first 2 shown]
	s_mov_b32 s82, s79
	s_mul_u64 s[78:79], s[42:43], s[34:35]
	s_mov_b32 s42, s39
	s_mov_b32 s44, s77
	;; [unrolled: 1-line block ×6, first 2 shown]
	s_add_nc_u64 s[76:77], s[86:87], s[76:77]
	s_mul_u64 s[86:87], s[42:43], s[30:31]
	s_mov_b32 s59, s43
	s_mul_i32 s50, s50, 15
	s_mov_b32 s56, s101
	s_mov_b32 s101, s43
	s_add_nc_u64 s[48:49], s[48:49], s[54:55]
	s_mov_b32 s54, s40
	s_add_nc_u64 s[62:63], s[90:91], s[62:63]
	s_add_nc_u64 s[86:87], s[86:87], s[94:95]
	s_mov_b32 s94, s6
	s_lshr_b64 s[66:67], s[66:67], 3
	s_add_nc_u64 s[92:93], s[92:93], s[100:101]
	s_add_nc_u64 s[68:69], s[68:69], s[70:71]
	s_mul_u64 s[90:91], s[54:55], s[30:31]
	s_mul_i32 s70, s66, 15
	s_mul_u64 s[66:67], s[94:95], s[30:31]
	s_add_nc_u64 s[58:59], s[58:59], s[82:83]
	s_mul_u64 s[80:81], s[80:81], s[34:35]
	s_mul_u64 s[82:83], s[94:95], s[34:35]
	s_sub_co_i32 s95, s6, s50
	s_mov_b32 s50, s77
	s_mul_u64 s[76:77], s[42:43], s[34:35]
	s_mov_b32 s42, s41
	s_mov_b32 s46, s63
	s_mov_b32 s63, s43
	s_mov_b32 s57, s43
	s_lshr_b64 s[74:75], s[74:75], 3
	s_mov_b32 s84, s93
	s_mov_b32 s90, s91
	;; [unrolled: 1-line block ×3, first 2 shown]
	s_add_nc_u64 s[62:63], s[80:81], s[62:63]
	s_mul_u64 s[80:81], s[42:43], s[30:31]
	s_mov_b32 s45, s43
	s_mov_b32 s51, s43
	s_mul_i32 s74, s74, 15
	s_add_nc_u64 s[48:49], s[98:99], s[48:49]
	s_add_nc_u64 s[56:57], s[56:57], s[84:85]
	;; [unrolled: 1-line block ×3, first 2 shown]
	s_mul_u64 s[90:91], s[42:43], s[34:35]
	s_mov_b32 s42, s7
	s_mov_b32 s66, s67
	;; [unrolled: 1-line block ×3, first 2 shown]
	s_add_nc_u64 s[56:57], s[60:61], s[56:57]
	s_mul_u64 s[72:73], s[72:73], s[34:35]
	s_add_nc_u64 s[58:59], s[64:65], s[58:59]
	s_mul_u64 s[64:65], s[42:43], s[30:31]
	;; [unrolled: 2-line block ×3, first 2 shown]
	s_sub_co_i32 s42, s6, s74
	s_lshr_b64 s[48:49], s[48:49], 3
	s_mov_b32 s74, s87
	s_mov_b32 s87, s43
	;; [unrolled: 1-line block ×4, first 2 shown]
	s_mul_u64 s[54:55], s[54:55], s[34:35]
	s_sub_co_i32 s97, s6, s52
	s_mul_i32 s84, s48, 15
	s_lshr_b64 s[48:49], s[56:57], 3
	s_mov_b32 s52, s63
	s_add_nc_u64 s[56:57], s[72:73], s[86:87]
	s_mov_b32 s92, s81
	s_mov_b32 s81, s43
	s_add_nc_u64 s[62:63], s[64:65], s[66:67]
	s_mov_b32 s75, s43
	s_mov_b32 s71, s43
	s_lshr_b64 s[68:69], s[68:69], 3
	s_sub_co_i32 s98, s6, s70
	s_mul_i32 s64, s48, 15
	s_lshr_b64 s[48:49], s[58:59], 3
	s_add_nc_u64 s[44:45], s[88:89], s[44:45]
	s_add_nc_u64 s[46:47], s[46:47], s[52:53]
	s_mov_b32 s70, s57
	s_add_nc_u64 s[52:53], s[54:55], s[80:81]
	s_mov_b32 s60, s63
	s_mov_b32 s63, s43
	;; [unrolled: 1-line block ×3, first 2 shown]
	s_mul_i32 s68, s68, 15
	s_sub_co_i32 s54, s6, s84
	s_mul_i32 s55, s48, 15
	s_lshr_b64 s[44:45], s[44:45], 3
	s_add_nc_u64 s[46:47], s[78:79], s[46:47]
	s_add_nc_u64 s[48:49], s[74:75], s[70:71]
	s_mov_b32 s84, s53
	s_add_nc_u64 s[52:53], s[82:83], s[62:63]
	s_mov_b32 s61, s43
	s_mov_b32 s69, s43
	s_sub_co_i32 s56, s6, s68
	s_mul_i32 s57, s44, 15
	s_lshr_b64 s[44:45], s[46:47], 3
	s_add_nc_u64 s[46:47], s[76:77], s[48:49]
	s_add_nc_u64 s[48:49], s[92:93], s[84:85]
	s_mov_b32 s68, s53
	s_sub_co_i32 s53, s6, s55
	s_mul_i32 s55, s44, 15
	s_lshr_b64 s[44:45], s[46:47], 3
	s_add_nc_u64 s[46:47], s[90:91], s[48:49]
	s_add_nc_u64 s[48:49], s[60:61], s[68:69]
	s_mul_i32 s58, s44, 15
	s_lshr_b64 s[44:45], s[46:47], 3
	s_add_nc_u64 s[46:47], s[50:51], s[48:49]
	s_mul_i32 s49, s44, 15
	s_lshr_b64 s[44:45], s[46:47], 3
	s_sub_co_i32 s33, s6, s33
	s_mul_i32 s44, s44, -15
	s_sub_co_i32 s46, s6, s49
	s_add_co_i32 m0, s6, s44
	s_sub_co_i32 s45, s6, s58
	s_sub_co_i32 s48, s6, s55
	s_wait_loadcnt 0x0
	v_movreld_b32_e32 v0, v15
	s_add_co_i32 m0, s33, 1
	s_sub_co_i32 s57, s6, s57
	v_movrels_b32_e32 v36, v0
	s_add_co_i32 m0, s46, 2
	s_sub_co_i32 s52, s6, s64
	v_movrels_b32_e32 v37, v0
	s_add_co_i32 m0, s45, 3
	v_fma_f32 v36, v16, v36, 0
	v_movrels_b32_e32 v38, v0
	s_add_co_i32 m0, s48, 4
	s_sub_co_i32 s96, s6, s96
	v_movrels_b32_e32 v39, v0
	v_fmac_f32_e32 v36, v17, v37
	s_add_co_i32 m0, s57, 5
	s_sub_co_i32 s94, s6, s104
	v_movrels_b32_e32 v40, v0
	s_add_co_i32 m0, s53, 6
	v_fmac_f32_e32 v36, v18, v38
	v_movrels_b32_e32 v41, v0
	s_add_co_i32 m0, s52, 7
	s_add_nc_u64 s[6:7], s[6:7], 1
	v_movrels_b32_e32 v37, v0
	v_fmac_f32_e32 v36, v19, v39
	s_add_co_i32 m0, s54, 8
	s_add_nc_u64 s[4:5], s[4:5], 1
	v_movrels_b32_e32 v42, v0
	s_add_co_i32 m0, s56, 9
	v_fmac_f32_e32 v36, v20, v40
	v_movrels_b32_e32 v38, v0
	s_add_co_i32 m0, s98, 10
	s_add_nc_u64 s[8:9], s[8:9], 1
	v_movrels_b32_e32 v43, v0
	v_fmac_f32_e32 v36, v21, v41
	s_add_co_i32 m0, s42, 11
	s_add_nc_u64 s[10:11], s[10:11], 1
	;; [unrolled: 10-line block ×3, first 2 shown]
	v_movrels_b32_e32 v40, v0
	s_add_co_i32 m0, s94, 15
	v_fmac_f32_e32 v36, v24, v38
	v_movrels_b32_e32 v15, v0
	s_add_nc_u64 s[16:17], s[16:17], 1
	s_add_nc_u64 s[18:19], s[18:19], 1
	;; [unrolled: 1-line block ×3, first 2 shown]
	v_fmac_f32_e32 v36, v25, v43
	s_add_nc_u64 s[22:23], s[22:23], 1
	s_add_nc_u64 s[24:25], s[24:25], 1
	;; [unrolled: 1-line block ×4, first 2 shown]
	v_fmac_f32_e32 v36, v26, v44
	s_add_nc_u64 s[36:37], s[36:37], 1
	s_add_nc_u64 s[38:39], s[38:39], 1
	s_wait_alu 0xfffe
	s_cmp_eq_u64 s[2:3], s[6:7]
	s_add_nc_u64 s[40:41], s[40:41], 1
	v_fmac_f32_e32 v36, v27, v39
	s_delay_alu instid0(VALU_DEP_1) | instskip(NEXT) | instid1(VALU_DEP_1)
	v_fmac_f32_e32 v36, v28, v45
	v_fmac_f32_e32 v36, v29, v40
	s_delay_alu instid0(VALU_DEP_1) | instskip(NEXT) | instid1(VALU_DEP_1)
	v_fmac_f32_e32 v36, v30, v15
	v_add_f32_e32 v15, v35, v36
	s_delay_alu instid0(VALU_DEP_1) | instskip(NEXT) | instid1(VALU_DEP_1)
	v_mul_f32_e32 v36, 0xbfb8aa3b, v15
	v_fma_f32 v37, 0xbfb8aa3b, v15, -v36
	v_rndne_f32_e32 v38, v36
	s_delay_alu instid0(VALU_DEP_1) | instskip(SKIP_1) | instid1(VALU_DEP_2)
	v_dual_sub_f32 v36, v36, v38 :: v_dual_fmac_f32 v37, 0xb2a5705f, v15
	v_cmp_nlt_f32_e32 vcc_lo, 0x42ce8ed0, v15
	v_add_f32_e32 v36, v36, v37
	v_cvt_i32_f32_e32 v37, v38
	s_delay_alu instid0(VALU_DEP_2) | instskip(NEXT) | instid1(TRANS32_DEP_1)
	v_exp_f32_e32 v36, v36
	v_ldexp_f32 v36, v36, v37
	s_wait_alu 0xfffd
	s_delay_alu instid0(VALU_DEP_1) | instskip(SKIP_2) | instid1(VALU_DEP_2)
	v_cndmask_b32_e32 v36, 0, v36, vcc_lo
	v_cmp_ngt_f32_e32 vcc_lo, 0xc2b17218, v15
	s_wait_alu 0xfffd
	v_cndmask_b32_e32 v36, 0x7f800000, v36, vcc_lo
	s_delay_alu instid0(VALU_DEP_1) | instskip(NEXT) | instid1(VALU_DEP_1)
	v_add_f32_e32 v36, 1.0, v36
	v_div_scale_f32 v37, null, v36, v36, v15
	v_div_scale_f32 v39, vcc_lo, v15, v36, v15
	s_delay_alu instid0(VALU_DEP_2) | instskip(NEXT) | instid1(TRANS32_DEP_1)
	v_rcp_f32_e32 v38, v37
	v_fma_f32 v40, -v37, v38, 1.0
	s_delay_alu instid0(VALU_DEP_1) | instskip(NEXT) | instid1(VALU_DEP_1)
	v_fmac_f32_e32 v38, v40, v38
	v_mul_f32_e32 v40, v39, v38
	s_delay_alu instid0(VALU_DEP_1) | instskip(NEXT) | instid1(VALU_DEP_1)
	v_fma_f32 v41, -v37, v40, v39
	v_fmac_f32_e32 v40, v41, v38
	s_delay_alu instid0(VALU_DEP_1) | instskip(SKIP_1) | instid1(VALU_DEP_1)
	v_fma_f32 v37, -v37, v40, v39
	s_wait_alu 0xfffd
	v_div_fmas_f32 v37, v37, v38, v40
	s_delay_alu instid0(VALU_DEP_1)
	v_div_fixup_f32 v15, v37, v36, v15
	global_store_b32 v[33:34], v15, off
	v_add_co_u32 v33, vcc_lo, v33, s0
	s_wait_alu 0xfffd
	v_add_co_ci_u32_e64 v34, null, s1, v34, vcc_lo
	s_cbranch_scc0 .LBB8_5
.LBB8_6:
	s_endpgm
	.section	.rodata,"a",@progbits
	.p2align	6, 0x0
	.amdhsa_kernel _ZL12ssm_conv_f32ILb1ELm128ELm15EEvPKfS1_S1_iiiiPfiiil
		.amdhsa_group_segment_fixed_size 0
		.amdhsa_private_segment_fixed_size 0
		.amdhsa_kernarg_size 72
		.amdhsa_user_sgpr_count 2
		.amdhsa_user_sgpr_dispatch_ptr 0
		.amdhsa_user_sgpr_queue_ptr 0
		.amdhsa_user_sgpr_kernarg_segment_ptr 1
		.amdhsa_user_sgpr_dispatch_id 0
		.amdhsa_user_sgpr_private_segment_size 0
		.amdhsa_wavefront_size32 1
		.amdhsa_uses_dynamic_stack 0
		.amdhsa_enable_private_segment 0
		.amdhsa_system_sgpr_workgroup_id_x 1
		.amdhsa_system_sgpr_workgroup_id_y 1
		.amdhsa_system_sgpr_workgroup_id_z 0
		.amdhsa_system_sgpr_workgroup_info 0
		.amdhsa_system_vgpr_workitem_id 0
		.amdhsa_next_free_vgpr 46
		.amdhsa_next_free_sgpr 105
		.amdhsa_reserve_vcc 1
		.amdhsa_float_round_mode_32 0
		.amdhsa_float_round_mode_16_64 0
		.amdhsa_float_denorm_mode_32 3
		.amdhsa_float_denorm_mode_16_64 3
		.amdhsa_fp16_overflow 0
		.amdhsa_workgroup_processor_mode 1
		.amdhsa_memory_ordered 1
		.amdhsa_forward_progress 1
		.amdhsa_inst_pref_size 22
		.amdhsa_round_robin_scheduling 0
		.amdhsa_exception_fp_ieee_invalid_op 0
		.amdhsa_exception_fp_denorm_src 0
		.amdhsa_exception_fp_ieee_div_zero 0
		.amdhsa_exception_fp_ieee_overflow 0
		.amdhsa_exception_fp_ieee_underflow 0
		.amdhsa_exception_fp_ieee_inexact 0
		.amdhsa_exception_int_div_zero 0
	.end_amdhsa_kernel
	.section	.text._ZL12ssm_conv_f32ILb1ELm128ELm15EEvPKfS1_S1_iiiiPfiiil,"axG",@progbits,_ZL12ssm_conv_f32ILb1ELm128ELm15EEvPKfS1_S1_iiiiPfiiil,comdat
.Lfunc_end8:
	.size	_ZL12ssm_conv_f32ILb1ELm128ELm15EEvPKfS1_S1_iiiiPfiiil, .Lfunc_end8-_ZL12ssm_conv_f32ILb1ELm128ELm15EEvPKfS1_S1_iiiiPfiiil
                                        ; -- End function
	.set _ZL12ssm_conv_f32ILb1ELm128ELm15EEvPKfS1_S1_iiiiPfiiil.num_vgpr, 46
	.set _ZL12ssm_conv_f32ILb1ELm128ELm15EEvPKfS1_S1_iiiiPfiiil.num_agpr, 0
	.set _ZL12ssm_conv_f32ILb1ELm128ELm15EEvPKfS1_S1_iiiiPfiiil.numbered_sgpr, 105
	.set _ZL12ssm_conv_f32ILb1ELm128ELm15EEvPKfS1_S1_iiiiPfiiil.num_named_barrier, 0
	.set _ZL12ssm_conv_f32ILb1ELm128ELm15EEvPKfS1_S1_iiiiPfiiil.private_seg_size, 0
	.set _ZL12ssm_conv_f32ILb1ELm128ELm15EEvPKfS1_S1_iiiiPfiiil.uses_vcc, 1
	.set _ZL12ssm_conv_f32ILb1ELm128ELm15EEvPKfS1_S1_iiiiPfiiil.uses_flat_scratch, 0
	.set _ZL12ssm_conv_f32ILb1ELm128ELm15EEvPKfS1_S1_iiiiPfiiil.has_dyn_sized_stack, 0
	.set _ZL12ssm_conv_f32ILb1ELm128ELm15EEvPKfS1_S1_iiiiPfiiil.has_recursion, 0
	.set _ZL12ssm_conv_f32ILb1ELm128ELm15EEvPKfS1_S1_iiiiPfiiil.has_indirect_call, 0
	.section	.AMDGPU.csdata,"",@progbits
; Kernel info:
; codeLenInByte = 2800
; TotalNumSgprs: 107
; NumVgprs: 46
; ScratchSize: 0
; MemoryBound: 0
; FloatMode: 240
; IeeeMode: 1
; LDSByteSize: 0 bytes/workgroup (compile time only)
; SGPRBlocks: 0
; VGPRBlocks: 5
; NumSGPRsForWavesPerEU: 107
; NumVGPRsForWavesPerEU: 46
; Occupancy: 16
; WaveLimiterHint : 0
; COMPUTE_PGM_RSRC2:SCRATCH_EN: 0
; COMPUTE_PGM_RSRC2:USER_SGPR: 2
; COMPUTE_PGM_RSRC2:TRAP_HANDLER: 0
; COMPUTE_PGM_RSRC2:TGID_X_EN: 1
; COMPUTE_PGM_RSRC2:TGID_Y_EN: 1
; COMPUTE_PGM_RSRC2:TGID_Z_EN: 0
; COMPUTE_PGM_RSRC2:TIDIG_COMP_CNT: 0
	.section	.text._ZL23ssm_conv_long_token_f32ILb1ELm128ELm15ELl32EEvPKfS1_S1_iiiiPfiiil,"axG",@progbits,_ZL23ssm_conv_long_token_f32ILb1ELm128ELm15ELl32EEvPKfS1_S1_iiiiPfiiil,comdat
	.globl	_ZL23ssm_conv_long_token_f32ILb1ELm128ELm15ELl32EEvPKfS1_S1_iiiiPfiiil ; -- Begin function _ZL23ssm_conv_long_token_f32ILb1ELm128ELm15ELl32EEvPKfS1_S1_iiiiPfiiil
	.p2align	8
	.type	_ZL23ssm_conv_long_token_f32ILb1ELm128ELm15ELl32EEvPKfS1_S1_iiiiPfiiil,@function
_ZL23ssm_conv_long_token_f32ILb1ELm128ELm15ELl32EEvPKfS1_S1_iiiiPfiiil: ; @_ZL23ssm_conv_long_token_f32ILb1ELm128ELm15ELl32EEvPKfS1_S1_iiiiPfiiil
; %bb.0:
	v_mul_u32_u24_e32 v1, 0x591, v0
	s_clause 0x1
	s_load_b128 s[4:7], s[0:1], 0x18
	s_load_b64 s[8:9], s[0:1], 0x0
	s_lshr_b32 s10, ttmp7, 11
	s_and_b32 s2, ttmp7, 0xffff
	v_lshrrev_b32_e32 v1, 16, v1
	s_and_b32 s12, s10, 0x1fffe0
	s_mov_b32 s3, 0
	s_lshl_b32 s2, s2, 7
	s_mov_b32 s13, s3
	v_mul_lo_u16 v2, v1, 46
	s_delay_alu instid0(VALU_DEP_1) | instskip(NEXT) | instid1(VALU_DEP_1)
	v_sub_nc_u16 v2, v0, v2
	v_or_b32_e32 v3, 0xffffff80, v2
	v_and_b32_e32 v2, 0xffff, v2
	s_wait_kmcnt 0x0
	s_mul_i32 s10, s6, ttmp9
	s_ashr_i32 s6, s5, 2
	s_ashr_i32 s15, s5, 31
	v_lshrrev_b16 v4, 1, v3
	s_mov_b32 s14, s5
	s_ashr_i32 s11, s10, 31
	s_ashr_i32 s17, s4, 31
	s_mov_b32 s16, s4
	v_and_b32_e32 v4, 0x7f, v4
	s_mul_u64 s[4:5], s[2:3], s[14:15]
	s_add_nc_u64 s[8:9], s[8:9], s[10:11]
	s_mul_u64 s[10:11], s[12:13], s[16:17]
	s_add_nc_u64 s[4:5], s[8:9], s[4:5]
	v_mul_lo_u16 v4, 0xb3, v4
	s_add_nc_u64 s[4:5], s[4:5], s[10:11]
	s_mov_b32 s8, exec_lo
	s_delay_alu instid0(VALU_DEP_1) | instskip(NEXT) | instid1(VALU_DEP_1)
	v_lshrrev_b16 v5, 12, v4
	v_mul_lo_u16 v4, v5, 46
	v_and_b32_e32 v5, 0xffff, v5
	s_delay_alu instid0(VALU_DEP_2) | instskip(NEXT) | instid1(VALU_DEP_2)
	v_sub_nc_u16 v6, v3, v4
	v_add_nc_u32_e32 v24, v1, v5
	s_delay_alu instid0(VALU_DEP_2) | instskip(SKIP_1) | instid1(VALU_DEP_2)
	v_or_b32_e32 v3, 0xffffff80, v6
	v_and_b32_e32 v5, 0xff, v6
	v_lshrrev_b16 v4, 1, v3
	s_delay_alu instid0(VALU_DEP_1) | instskip(NEXT) | instid1(VALU_DEP_1)
	v_and_b32_e32 v4, 0x7f, v4
	v_mul_lo_u16 v4, 0xb3, v4
	s_delay_alu instid0(VALU_DEP_1) | instskip(NEXT) | instid1(VALU_DEP_1)
	v_lshrrev_b16 v7, 12, v4
	v_mul_lo_u16 v4, v7, 46
	s_delay_alu instid0(VALU_DEP_1) | instskip(NEXT) | instid1(VALU_DEP_1)
	v_sub_nc_u16 v8, v3, v4
	v_or_b32_e32 v3, 0xffffff80, v8
	v_and_b32_e32 v8, 0xff, v8
	s_delay_alu instid0(VALU_DEP_2) | instskip(NEXT) | instid1(VALU_DEP_1)
	v_lshrrev_b16 v4, 1, v3
	v_and_b32_e32 v4, 0x7f, v4
	s_delay_alu instid0(VALU_DEP_1) | instskip(NEXT) | instid1(VALU_DEP_1)
	v_mul_lo_u16 v4, 0xb3, v4
	v_lshrrev_b16 v11, 12, v4
	s_delay_alu instid0(VALU_DEP_1) | instskip(SKIP_1) | instid1(VALU_DEP_2)
	v_mul_lo_u16 v4, v11, 46
	v_and_b32_e32 v11, 0xffff, v11
	v_sub_nc_u16 v12, v3, v4
	s_delay_alu instid0(VALU_DEP_1) | instskip(NEXT) | instid1(VALU_DEP_1)
	v_or_b32_e32 v3, 0xffffff80, v12
	v_lshrrev_b16 v4, 1, v3
	s_delay_alu instid0(VALU_DEP_1) | instskip(NEXT) | instid1(VALU_DEP_1)
	v_and_b32_e32 v4, 0x7f, v4
	v_mul_lo_u16 v4, 0xb3, v4
	s_delay_alu instid0(VALU_DEP_1) | instskip(NEXT) | instid1(VALU_DEP_1)
	v_lshrrev_b16 v13, 12, v4
	v_mul_lo_u16 v4, v13, 46
	s_delay_alu instid0(VALU_DEP_1) | instskip(NEXT) | instid1(VALU_DEP_1)
	v_sub_nc_u16 v14, v3, v4
	v_or_b32_e32 v3, 0xffffff80, v14
	s_delay_alu instid0(VALU_DEP_1) | instskip(NEXT) | instid1(VALU_DEP_1)
	v_lshrrev_b16 v4, 1, v3
	v_and_b32_e32 v4, 0x7f, v4
	s_delay_alu instid0(VALU_DEP_1) | instskip(NEXT) | instid1(VALU_DEP_1)
	v_mul_lo_u16 v4, 0xb3, v4
	v_lshrrev_b16 v15, 12, v4
	s_delay_alu instid0(VALU_DEP_1) | instskip(NEXT) | instid1(VALU_DEP_1)
	v_mul_lo_u16 v4, v15, 46
	v_sub_nc_u16 v16, v3, v4
	s_delay_alu instid0(VALU_DEP_1) | instskip(NEXT) | instid1(VALU_DEP_1)
	v_or_b32_e32 v3, 0xffffff80, v16
	v_lshrrev_b16 v4, 1, v3
	s_delay_alu instid0(VALU_DEP_1) | instskip(NEXT) | instid1(VALU_DEP_1)
	v_and_b32_e32 v4, 0x7f, v4
	v_mul_lo_u16 v4, 0xb3, v4
	s_delay_alu instid0(VALU_DEP_1) | instskip(NEXT) | instid1(VALU_DEP_1)
	v_lshrrev_b16 v17, 12, v4
	v_mul_lo_u16 v4, v17, 46
	s_delay_alu instid0(VALU_DEP_1) | instskip(NEXT) | instid1(VALU_DEP_1)
	v_sub_nc_u16 v18, v3, v4
	v_or_b32_e32 v3, 0xffffff80, v18
	s_delay_alu instid0(VALU_DEP_1) | instskip(NEXT) | instid1(VALU_DEP_1)
	v_lshrrev_b16 v4, 1, v3
	v_and_b32_e32 v4, 0x7f, v4
	s_delay_alu instid0(VALU_DEP_1) | instskip(NEXT) | instid1(VALU_DEP_1)
	v_mul_lo_u16 v4, 0xb3, v4
	v_lshrrev_b16 v19, 12, v4
	s_delay_alu instid0(VALU_DEP_1) | instskip(NEXT) | instid1(VALU_DEP_1)
	v_mul_lo_u16 v4, v19, 46
	v_sub_nc_u16 v20, v3, v4
	s_delay_alu instid0(VALU_DEP_1) | instskip(NEXT) | instid1(VALU_DEP_1)
	v_or_b32_e32 v3, 0xffffff80, v20
	v_lshrrev_b16 v4, 1, v3
	s_delay_alu instid0(VALU_DEP_1) | instskip(NEXT) | instid1(VALU_DEP_1)
	v_and_b32_e32 v4, 0x7f, v4
	v_mul_lo_u16 v4, 0xb3, v4
	s_delay_alu instid0(VALU_DEP_1) | instskip(NEXT) | instid1(VALU_DEP_1)
	v_lshrrev_b16 v21, 12, v4
	v_mul_lo_u16 v4, v21, 46
	s_delay_alu instid0(VALU_DEP_1) | instskip(NEXT) | instid1(VALU_DEP_1)
	v_sub_nc_u16 v22, v3, v4
	v_or_b32_e32 v9, 0xffffff80, v22
	s_delay_alu instid0(VALU_DEP_1) | instskip(NEXT) | instid1(VALU_DEP_1)
	v_lshrrev_b16 v3, 1, v9
	v_and_b32_e32 v10, 0x7f, v3
	v_mad_co_u64_u32 v[3:4], null, s6, v1, v[2:3]
	v_mul_u32_u24_e32 v1, 0xb8, v1
	v_lshlrev_b32_e32 v2, 2, v2
	s_delay_alu instid0(VALU_DEP_4) | instskip(NEXT) | instid1(VALU_DEP_2)
	v_mul_lo_u16 v10, 0xb3, v10
	v_add3_u32 v43, 0, v1, v2
	s_delay_alu instid0(VALU_DEP_2) | instskip(SKIP_3) | instid1(VALU_DEP_4)
	v_lshrrev_b16 v23, 12, v10
	v_ashrrev_i32_e32 v4, 31, v3
	v_and_b32_e32 v10, 0xffff, v7
	v_mad_co_u64_u32 v[6:7], null, v24, s6, v[5:6]
	v_mul_lo_u16 v25, v23, 46
	s_delay_alu instid0(VALU_DEP_4) | instskip(NEXT) | instid1(VALU_DEP_4)
	v_lshlrev_b64_e32 v[3:4], 2, v[3:4]
	v_add_nc_u32_e32 v26, v24, v10
	v_mul_u32_u24_e32 v2, 0xb8, v24
	v_and_b32_e32 v1, 0xff, v14
	v_sub_nc_u16 v25, v9, v25
	v_ashrrev_i32_e32 v7, 31, v6
	v_mad_co_u64_u32 v[9:10], null, v26, s6, v[8:9]
	v_add_co_u32 v3, vcc_lo, s4, v3
	s_delay_alu instid0(VALU_DEP_4) | instskip(SKIP_3) | instid1(VALU_DEP_4)
	v_or_b32_e32 v27, 0xffffff80, v25
	v_add_co_ci_u32_e64 v4, null, s5, v4, vcc_lo
	v_add_nc_u32_e32 v11, v26, v11
	v_ashrrev_i32_e32 v10, 31, v9
	v_lshrrev_b16 v29, 1, v27
	global_load_b32 v28, v[3:4], off
	v_lshlrev_b64_e32 v[3:4], 2, v[6:7]
	v_lshlrev_b32_e32 v8, 2, v8
	v_and_b32_e32 v6, 0x7f, v29
	s_delay_alu instid0(VALU_DEP_3) | instskip(NEXT) | instid1(VALU_DEP_2)
	v_add_co_u32 v3, vcc_lo, s4, v3
	v_mul_lo_u16 v29, 0xb3, v6
	v_lshlrev_b64_e32 v[6:7], 2, v[9:10]
	s_wait_alu 0xfffd
	v_add_co_ci_u32_e64 v4, null, s5, v4, vcc_lo
	s_delay_alu instid0(VALU_DEP_3) | instskip(NEXT) | instid1(VALU_DEP_3)
	v_lshrrev_b16 v29, 12, v29
	v_add_co_u32 v6, vcc_lo, s4, v6
	s_wait_alu 0xfffd
	v_add_co_ci_u32_e64 v7, null, s5, v7, vcc_lo
	s_clause 0x1
	global_load_b32 v30, v[3:4], off
	global_load_b32 v31, v[6:7], off
	v_and_b32_e32 v3, 0xff, v12
	s_delay_alu instid0(VALU_DEP_1) | instskip(SKIP_3) | instid1(VALU_DEP_3)
	v_mad_co_u64_u32 v[9:10], null, v11, s6, v[3:4]
	v_mul_lo_u16 v4, v29, 46
	v_lshlrev_b32_e32 v3, 2, v3
	v_and_b32_e32 v29, 0xffff, v29
	v_sub_nc_u16 v27, v27, v4
	v_ashrrev_i32_e32 v10, 31, v9
	s_delay_alu instid0(VALU_DEP_2) | instskip(NEXT) | instid1(VALU_DEP_2)
	v_or_b32_e32 v4, 0xffffff80, v27
	v_lshlrev_b64_e32 v[6:7], 2, v[9:10]
	v_mul_u32_u24_e32 v10, 0xb8, v26
	s_delay_alu instid0(VALU_DEP_3) | instskip(NEXT) | instid1(VALU_DEP_3)
	v_lshrrev_b16 v9, 1, v4
	v_add_co_u32 v6, vcc_lo, s4, v6
	s_wait_alu 0xfffd
	s_delay_alu instid0(VALU_DEP_4) | instskip(NEXT) | instid1(VALU_DEP_3)
	v_add_co_ci_u32_e64 v7, null, s5, v7, vcc_lo
	v_and_b32_e32 v9, 0x7f, v9
	v_add3_u32 v44, 0, v10, v8
	v_and_b32_e32 v8, 0xffff, v15
	global_load_b32 v32, v[6:7], off
	v_and_b32_e32 v10, 0xffff, v17
	v_mul_lo_u16 v6, 0xb3, v9
	v_lshlrev_b32_e32 v9, 2, v5
	v_and_b32_e32 v17, 0xffff, v19
	s_delay_alu instid0(VALU_DEP_3) | instskip(NEXT) | instid1(VALU_DEP_3)
	v_lshrrev_b16 v33, 12, v6
	v_add3_u32 v26, 0, v2, v9
	v_mul_u32_u24_e32 v9, 0xb8, v11
	s_delay_alu instid0(VALU_DEP_3) | instskip(NEXT) | instid1(VALU_DEP_2)
	v_mul_lo_u16 v6, v33, 46
	v_add3_u32 v45, 0, v9, v3
	v_and_b32_e32 v3, 0xff, v16
	s_delay_alu instid0(VALU_DEP_3) | instskip(NEXT) | instid1(VALU_DEP_1)
	v_sub_nc_u16 v34, v4, v6
	v_or_b32_e32 v4, 0xffffff80, v34
	s_delay_alu instid0(VALU_DEP_1) | instskip(NEXT) | instid1(VALU_DEP_1)
	v_lshrrev_b16 v6, 1, v4
	v_and_b32_e32 v6, 0x7f, v6
	s_delay_alu instid0(VALU_DEP_1) | instskip(NEXT) | instid1(VALU_DEP_1)
	v_mul_lo_u16 v6, 0xb3, v6
	v_lshrrev_b16 v35, 12, v6
	s_delay_alu instid0(VALU_DEP_1) | instskip(NEXT) | instid1(VALU_DEP_1)
	v_mul_lo_u16 v6, v35, 46
	v_sub_nc_u16 v36, v4, v6
	s_delay_alu instid0(VALU_DEP_1) | instskip(NEXT) | instid1(VALU_DEP_1)
	v_or_b32_e32 v4, 0xffffff80, v36
	v_lshrrev_b16 v6, 1, v4
	s_delay_alu instid0(VALU_DEP_1) | instskip(NEXT) | instid1(VALU_DEP_1)
	v_and_b32_e32 v6, 0x7f, v6
	v_mul_lo_u16 v6, 0xb3, v6
	s_delay_alu instid0(VALU_DEP_1) | instskip(NEXT) | instid1(VALU_DEP_1)
	v_lshrrev_b16 v37, 12, v6
	v_mul_lo_u16 v6, v37, 46
	s_delay_alu instid0(VALU_DEP_1) | instskip(NEXT) | instid1(VALU_DEP_1)
	v_sub_nc_u16 v38, v4, v6
	v_or_b32_e32 v4, 0xffffff80, v38
	s_delay_alu instid0(VALU_DEP_1) | instskip(NEXT) | instid1(VALU_DEP_1)
	v_lshrrev_b16 v6, 1, v4
	v_and_b32_e32 v6, 0x7f, v6
	s_delay_alu instid0(VALU_DEP_1) | instskip(NEXT) | instid1(VALU_DEP_1)
	v_mul_lo_u16 v6, 0xb3, v6
	v_lshrrev_b16 v39, 12, v6
	s_delay_alu instid0(VALU_DEP_1) | instskip(NEXT) | instid1(VALU_DEP_1)
	v_mul_lo_u16 v6, v39, 46
	v_sub_nc_u16 v40, v4, v6
	s_delay_alu instid0(VALU_DEP_1) | instskip(NEXT) | instid1(VALU_DEP_1)
	v_or_b32_e32 v4, 0xffffff80, v40
	v_lshrrev_b16 v6, 1, v4
	s_delay_alu instid0(VALU_DEP_1) | instskip(NEXT) | instid1(VALU_DEP_1)
	v_and_b32_e32 v6, 0x7f, v6
	v_mul_lo_u16 v6, 0xb3, v6
	s_delay_alu instid0(VALU_DEP_1) | instskip(NEXT) | instid1(VALU_DEP_1)
	v_lshrrev_b16 v41, 12, v6
	v_mul_lo_u16 v6, v41, 46
	s_delay_alu instid0(VALU_DEP_1) | instskip(SKIP_1) | instid1(VALU_DEP_2)
	v_sub_nc_u16 v42, v4, v6
	v_and_b32_e32 v4, 0xffff, v13
	v_or_b32_e32 v6, 0xffffff80, v42
	s_delay_alu instid0(VALU_DEP_2) | instskip(NEXT) | instid1(VALU_DEP_2)
	v_add_nc_u32_e32 v7, v11, v4
	v_lshrrev_b16 v12, 1, v6
	s_delay_alu instid0(VALU_DEP_2) | instskip(SKIP_2) | instid1(VALU_DEP_4)
	v_mad_co_u64_u32 v[4:5], null, v7, s6, v[1:2]
	v_add_nc_u32_e32 v8, v7, v8
	v_lshlrev_b32_e32 v1, 2, v1
	v_and_b32_e32 v2, 0x7f, v12
	s_delay_alu instid0(VALU_DEP_3) | instskip(SKIP_1) | instid1(VALU_DEP_3)
	v_add_nc_u32_e32 v9, v8, v10
	v_ashrrev_i32_e32 v5, 31, v4
	v_mul_lo_u16 v2, 0xb3, v2
	s_delay_alu instid0(VALU_DEP_2) | instskip(NEXT) | instid1(VALU_DEP_2)
	v_lshlrev_b64_e32 v[4:5], 2, v[4:5]
	v_lshrrev_b16 v46, 12, v2
	v_and_b32_e32 v2, 0xff, v18
	s_delay_alu instid0(VALU_DEP_2) | instskip(NEXT) | instid1(VALU_DEP_4)
	v_mul_lo_u16 v10, v46, 46
	v_mad_co_u64_u32 v[11:12], null, v8, s6, v[3:4]
	s_delay_alu instid0(VALU_DEP_3) | instskip(NEXT) | instid1(VALU_DEP_3)
	v_mad_co_u64_u32 v[13:14], null, v9, s6, v[2:3]
	v_sub_nc_u16 v47, v6, v10
	v_add_co_u32 v15, vcc_lo, s4, v4
	s_wait_alu 0xfffd
	v_add_co_ci_u32_e64 v16, null, s5, v5, vcc_lo
	v_ashrrev_i32_e32 v12, 31, v11
	v_or_b32_e32 v24, 0xffffff80, v47
	v_ashrrev_i32_e32 v14, 31, v13
	v_add_nc_u32_e32 v10, v9, v17
	v_and_b32_e32 v4, 0xff, v20
	v_lshlrev_b64_e32 v[5:6], 2, v[11:12]
	v_lshrrev_b16 v17, 1, v24
	v_lshlrev_b64_e32 v[11:12], 2, v[13:14]
	v_lshlrev_b32_e32 v3, 2, v3
	v_lshlrev_b32_e32 v2, 2, v2
	v_mad_co_u64_u32 v[13:14], null, v10, s6, v[4:5]
	v_and_b32_e32 v14, 0x7f, v17
	v_add_co_u32 v17, vcc_lo, s4, v5
	s_wait_alu 0xfffd
	v_add_co_ci_u32_e64 v18, null, s5, v6, vcc_lo
	s_delay_alu instid0(VALU_DEP_3) | instskip(SKIP_3) | instid1(VALU_DEP_4)
	v_mul_lo_u16 v6, 0xb3, v14
	v_and_b32_e32 v5, 0xffff, v21
	v_add_co_u32 v19, vcc_lo, s4, v11
	v_ashrrev_i32_e32 v14, 31, v13
	v_lshrrev_b16 v48, 12, v6
	v_and_b32_e32 v6, 0xffff, v23
	v_add_nc_u32_e32 v11, v10, v5
	v_and_b32_e32 v5, 0xff, v22
	s_wait_alu 0xfffd
	v_add_co_ci_u32_e64 v20, null, s5, v12, vcc_lo
	v_mul_lo_u16 v23, v48, 46
	v_add_nc_u32_e32 v12, v11, v6
	v_mad_co_u64_u32 v[21:22], null, v11, s6, v[5:6]
	v_and_b32_e32 v6, 0xff, v25
	s_delay_alu instid0(VALU_DEP_4) | instskip(SKIP_2) | instid1(VALU_DEP_4)
	v_sub_nc_u16 v49, v24, v23
	v_lshlrev_b64_e32 v[13:14], 2, v[13:14]
	v_add_nc_u32_e32 v72, v12, v29
	v_mad_co_u64_u32 v[23:24], null, v12, s6, v[6:7]
	s_delay_alu instid0(VALU_DEP_4) | instskip(NEXT) | instid1(VALU_DEP_4)
	v_or_b32_e32 v25, 0xffffff80, v49
	v_add_co_u32 v13, vcc_lo, s4, v13
	s_wait_alu 0xfffd
	v_add_co_ci_u32_e64 v14, null, s5, v14, vcc_lo
	s_delay_alu instid0(VALU_DEP_3)
	v_lshrrev_b16 v24, 1, v25
	s_clause 0x3
	global_load_b32 v68, v[15:16], off
	global_load_b32 v69, v[17:18], off
	;; [unrolled: 1-line block ×4, first 2 shown]
	v_and_b32_e32 v15, 0xff, v27
	v_and_b32_e32 v20, 0xffff, v33
	v_ashrrev_i32_e32 v22, 31, v21
	v_and_b32_e32 v16, 0x7f, v24
	v_ashrrev_i32_e32 v24, 31, v23
	v_mul_u32_u24_e32 v7, 0xb8, v7
	v_add_nc_u32_e32 v73, v72, v20
	v_and_b32_e32 v20, 0xff, v34
	v_mul_lo_u16 v16, 0xb3, v16
	v_lshlrev_b64_e32 v[13:14], 2, v[21:22]
	v_and_b32_e32 v34, 0xffff, v41
	v_add3_u32 v1, 0, v7, v1
	v_mad_co_u64_u32 v[21:22], null, v73, s6, v[20:21]
	v_lshrrev_b16 v50, 12, v16
	v_lshlrev_b64_e32 v[16:17], 2, v[23:24]
	v_and_b32_e32 v23, 0xffff, v35
	v_add_co_u32 v13, vcc_lo, s4, v13
	s_delay_alu instid0(VALU_DEP_4)
	v_and_b32_e32 v41, 0xffff, v50
	s_wait_alu 0xfffd
	v_add_co_ci_u32_e64 v14, null, s5, v14, vcc_lo
	v_mad_co_u64_u32 v[18:19], null, v72, s6, v[15:16]
	v_mul_lo_u16 v19, v50, 46
	s_wait_loadcnt 0x7
	ds_store_b32 v43, v28
	v_add_nc_u32_e32 v74, v73, v23
	v_and_b32_e32 v28, 0xffff, v37
	v_and_b32_e32 v23, 0xff, v36
	v_sub_nc_u16 v51, v25, v19
	v_ashrrev_i32_e32 v19, 31, v18
	v_add_co_u32 v16, vcc_lo, s4, v16
	v_add_nc_u32_e32 v75, v74, v28
	s_delay_alu instid0(VALU_DEP_4) | instskip(NEXT) | instid1(VALU_DEP_4)
	v_or_b32_e32 v27, 0xffffff80, v51
	v_lshlrev_b64_e32 v[18:19], 2, v[18:19]
	s_wait_alu 0xfffd
	v_add_co_ci_u32_e64 v17, null, s5, v17, vcc_lo
	v_mul_u32_u24_e32 v7, 0xb8, v8
	v_lshrrev_b16 v22, 1, v27
	v_mul_lo_u32 v8, 0xb8, v9
	s_wait_loadcnt 0x6
	ds_store_b32 v26, v30
	v_and_b32_e32 v30, 0xffff, v39
	v_add_co_u32 v18, vcc_lo, s4, v18
	v_and_b32_e32 v24, 0x7f, v22
	s_wait_loadcnt 0x5
	ds_store_b32 v44, v31
	v_add_nc_u32_e32 v76, v75, v30
	v_ashrrev_i32_e32 v22, 31, v21
	s_wait_alu 0xfffd
	v_add_co_ci_u32_e64 v19, null, s5, v19, vcc_lo
	v_mul_lo_u16 v26, 0xb3, v24
	v_add_nc_u32_e32 v77, v76, v34
	v_mad_co_u64_u32 v[24:25], null, v74, s6, v[23:24]
	v_lshlrev_b64_e32 v[21:22], 2, v[21:22]
	s_delay_alu instid0(VALU_DEP_4)
	v_lshrrev_b16 v43, 12, v26
	v_and_b32_e32 v26, 0xff, v38
	v_mul_lo_u32 v9, 0xb8, v10
	v_mul_lo_u32 v10, 0xb8, v11
	v_add3_u32 v3, 0, v7, v3
	v_mul_lo_u16 v29, v43, 46
	v_and_b32_e32 v43, 0xffff, v43
	v_ashrrev_i32_e32 v25, 31, v24
	v_add_co_u32 v21, vcc_lo, s4, v21
	s_delay_alu instid0(VALU_DEP_4) | instskip(SKIP_3) | instid1(VALU_DEP_4)
	v_sub_nc_u16 v44, v27, v29
	v_and_b32_e32 v29, 0xff, v40
	v_mad_co_u64_u32 v[27:28], null, v75, s6, v[26:27]
	v_lshlrev_b64_e32 v[24:25], 2, v[24:25]
	v_or_b32_e32 v38, 0xffffff80, v44
	s_delay_alu instid0(VALU_DEP_4) | instskip(SKIP_2) | instid1(VALU_DEP_3)
	v_mad_co_u64_u32 v[30:31], null, v76, s6, v[29:30]
	s_wait_alu 0xfffd
	v_add_co_ci_u32_e64 v22, null, s5, v22, vcc_lo
	v_lshrrev_b16 v33, 1, v38
	s_wait_loadcnt 0x4
	ds_store_b32 v45, v32
	v_and_b32_e32 v32, 0xff, v42
	v_ashrrev_i32_e32 v28, 31, v27
	v_add_co_u32 v24, vcc_lo, s4, v24
	v_and_b32_e32 v31, 0x7f, v33
	s_delay_alu instid0(VALU_DEP_4) | instskip(SKIP_2) | instid1(VALU_DEP_4)
	v_mad_co_u64_u32 v[33:34], null, v77, s6, v[32:33]
	v_and_b32_e32 v34, 0xffff, v46
	v_lshlrev_b64_e32 v[27:28], 2, v[27:28]
	v_mul_lo_u16 v35, 0xb3, v31
	v_ashrrev_i32_e32 v31, 31, v30
	s_wait_alu 0xfffd
	v_add_co_ci_u32_e64 v25, null, s5, v25, vcc_lo
	v_add_nc_u32_e32 v78, v77, v34
	v_lshrrev_b16 v52, 12, v35
	v_and_b32_e32 v35, 0xff, v47
	v_ashrrev_i32_e32 v34, 31, v33
	v_lshlrev_b64_e32 v[30:31], 2, v[30:31]
	v_add_co_u32 v27, vcc_lo, s4, v27
	v_mul_lo_u16 v39, v52, 46
	v_mad_co_u64_u32 v[36:37], null, v78, s6, v[35:36]
	v_and_b32_e32 v37, 0xffff, v48
	v_lshlrev_b64_e32 v[33:34], 2, v[33:34]
	s_delay_alu instid0(VALU_DEP_4)
	v_sub_nc_u16 v47, v38, v39
	v_and_b32_e32 v38, 0xff, v49
	s_wait_alu 0xfffd
	v_add_co_ci_u32_e64 v28, null, s5, v28, vcc_lo
	v_add_nc_u32_e32 v79, v78, v37
	v_or_b32_e32 v48, 0xffffff80, v47
	v_and_b32_e32 v47, 0xff, v47
	v_ashrrev_i32_e32 v37, 31, v36
	v_add_co_u32 v30, vcc_lo, s4, v30
	v_mad_co_u64_u32 v[39:40], null, v79, s6, v[38:39]
	v_lshrrev_b16 v40, 1, v48
	v_add_nc_u32_e32 v80, v79, v41
	v_lshlrev_b64_e32 v[36:37], 2, v[36:37]
	s_wait_alu 0xfffd
	v_add_co_ci_u32_e64 v31, null, s5, v31, vcc_lo
	v_and_b32_e32 v42, 0x7f, v40
	v_add_nc_u32_e32 v81, v80, v43
	v_ashrrev_i32_e32 v40, 31, v39
	v_add_co_u32 v33, vcc_lo, s4, v33
	s_delay_alu instid0(VALU_DEP_4) | instskip(SKIP_1) | instid1(VALU_DEP_4)
	v_mul_lo_u16 v41, 0xb3, v42
	v_and_b32_e32 v42, 0xff, v44
	v_lshlrev_b64_e32 v[39:40], 2, v[39:40]
	s_wait_alu 0xfffd
	v_add_co_ci_u32_e64 v34, null, s5, v34, vcc_lo
	v_lshrrev_b16 v49, 12, v41
	v_and_b32_e32 v41, 0xff, v51
	v_add_co_u32 v36, vcc_lo, s4, v36
	s_wait_alu 0xfffd
	v_add_co_ci_u32_e64 v37, null, s5, v37, vcc_lo
	v_mul_lo_u16 v50, v49, 46
	v_mad_co_u64_u32 v[43:44], null, v80, s6, v[41:42]
	v_and_b32_e32 v51, 0xffff, v49
	v_add_co_u32 v39, vcc_lo, s4, v39
	s_delay_alu instid0(VALU_DEP_4) | instskip(SKIP_3) | instid1(VALU_DEP_3)
	v_sub_nc_u16 v50, v48, v50
	s_wait_alu 0xfffd
	v_add_co_ci_u32_e64 v40, null, s5, v40, vcc_lo
	v_mad_co_u64_u32 v[45:46], null, v81, s6, v[42:43]
	v_or_b32_e32 v53, 0xffffff80, v50
	v_and_b32_e32 v46, 0xffff, v52
	v_and_b32_e32 v50, 0xff, v50
	v_ashrrev_i32_e32 v44, 31, v43
	v_add3_u32 v2, 0, v8, v2
	v_lshrrev_b16 v52, 1, v53
	v_add_nc_u32_e32 v82, v81, v46
	v_ashrrev_i32_e32 v46, 31, v45
	v_lshlrev_b64_e32 v[43:44], 2, v[43:44]
	v_lshlrev_b32_e32 v6, 2, v6
	v_and_b32_e32 v54, 0x7f, v52
	v_add_nc_u32_e32 v83, v82, v51
	v_mad_co_u64_u32 v[48:49], null, v82, s6, v[47:48]
	v_lshlrev_b64_e32 v[45:46], 2, v[45:46]
	s_delay_alu instid0(VALU_DEP_4) | instskip(NEXT) | instid1(VALU_DEP_4)
	v_mul_lo_u16 v54, 0xb3, v54
	v_mad_co_u64_u32 v[51:52], null, v83, s6, v[50:51]
	v_add_co_u32 v43, vcc_lo, s4, v43
	s_delay_alu instid0(VALU_DEP_3)
	v_lshrrev_b16 v54, 12, v54
	v_ashrrev_i32_e32 v49, 31, v48
	s_wait_alu 0xfffd
	v_add_co_ci_u32_e64 v44, null, s5, v44, vcc_lo
	v_ashrrev_i32_e32 v52, 31, v51
	v_mul_lo_u16 v55, v54, 46
	v_and_b32_e32 v54, 0xffff, v54
	v_lshlrev_b64_e32 v[48:49], 2, v[48:49]
	v_add_co_u32 v45, vcc_lo, s4, v45
	s_delay_alu instid0(VALU_DEP_4) | instskip(NEXT) | instid1(VALU_DEP_4)
	v_sub_nc_u16 v56, v53, v55
	v_add_nc_u32_e32 v84, v83, v54
	v_lshlrev_b64_e32 v[51:52], 2, v[51:52]
	s_wait_alu 0xfffd
	v_add_co_ci_u32_e64 v46, null, s5, v46, vcc_lo
	v_and_b32_e32 v53, 0xff, v56
	v_or_b32_e32 v56, 0xffffff80, v56
	v_add_co_u32 v48, vcc_lo, s4, v48
	s_wait_alu 0xfffd
	v_add_co_ci_u32_e64 v49, null, s5, v49, vcc_lo
	s_delay_alu instid0(VALU_DEP_3) | instskip(SKIP_2) | instid1(VALU_DEP_3)
	v_lshrrev_b16 v57, 1, v56
	v_mad_co_u64_u32 v[54:55], null, v84, s6, v[53:54]
	v_add_co_u32 v51, vcc_lo, s4, v51
	v_and_b32_e32 v57, 0x7f, v57
	s_wait_alu 0xfffd
	v_add_co_ci_u32_e64 v52, null, s5, v52, vcc_lo
	v_mul_lo_u32 v7, 0xb8, v75
	v_ashrrev_i32_e32 v55, 31, v54
	v_mul_lo_u16 v57, 0xb3, v57
	v_lshlrev_b32_e32 v8, 2, v26
	s_delay_alu instid0(VALU_DEP_3) | instskip(NEXT) | instid1(VALU_DEP_3)
	v_lshlrev_b64_e32 v[54:55], 2, v[54:55]
	v_lshrrev_b16 v57, 12, v57
	s_delay_alu instid0(VALU_DEP_1) | instskip(NEXT) | instid1(VALU_DEP_3)
	v_mul_lo_u16 v58, v57, 46
	v_add_co_u32 v54, vcc_lo, s4, v54
	s_wait_alu 0xfffd
	s_delay_alu instid0(VALU_DEP_4) | instskip(NEXT) | instid1(VALU_DEP_3)
	v_add_co_ci_u32_e64 v55, null, s5, v55, vcc_lo
	v_sub_nc_u16 v59, v56, v58
	v_and_b32_e32 v56, 0xffff, v57
	s_delay_alu instid0(VALU_DEP_1) | instskip(NEXT) | instid1(VALU_DEP_3)
	v_add_nc_u32_e32 v85, v84, v56
	v_and_b32_e32 v56, 0xff, v59
	v_or_b32_e32 v59, 0xffffff80, v59
	s_delay_alu instid0(VALU_DEP_2) | instskip(NEXT) | instid1(VALU_DEP_2)
	v_mad_co_u64_u32 v[57:58], null, v85, s6, v[56:57]
	v_lshrrev_b16 v60, 1, v59
	s_delay_alu instid0(VALU_DEP_1) | instskip(NEXT) | instid1(VALU_DEP_3)
	v_and_b32_e32 v60, 0x7f, v60
	v_ashrrev_i32_e32 v58, 31, v57
	s_delay_alu instid0(VALU_DEP_2) | instskip(NEXT) | instid1(VALU_DEP_2)
	v_mul_lo_u16 v60, 0xb3, v60
	v_lshlrev_b64_e32 v[57:58], 2, v[57:58]
	s_delay_alu instid0(VALU_DEP_2) | instskip(NEXT) | instid1(VALU_DEP_2)
	v_lshrrev_b16 v60, 12, v60
	v_add_co_u32 v57, vcc_lo, s4, v57
	s_wait_alu 0xfffd
	s_delay_alu instid0(VALU_DEP_3) | instskip(NEXT) | instid1(VALU_DEP_3)
	v_add_co_ci_u32_e64 v58, null, s5, v58, vcc_lo
	v_mul_lo_u16 v61, v60, 46
	s_delay_alu instid0(VALU_DEP_1) | instskip(SKIP_1) | instid1(VALU_DEP_1)
	v_sub_nc_u16 v62, v59, v61
	v_and_b32_e32 v59, 0xffff, v60
	v_add_nc_u32_e32 v86, v85, v59
	s_delay_alu instid0(VALU_DEP_3) | instskip(SKIP_1) | instid1(VALU_DEP_2)
	v_and_b32_e32 v59, 0xff, v62
	v_or_b32_e32 v62, 0xffffff80, v62
	v_mad_co_u64_u32 v[60:61], null, v86, s6, v[59:60]
	s_delay_alu instid0(VALU_DEP_2) | instskip(NEXT) | instid1(VALU_DEP_1)
	v_lshrrev_b16 v63, 1, v62
	v_and_b32_e32 v63, 0x7f, v63
	s_delay_alu instid0(VALU_DEP_3) | instskip(NEXT) | instid1(VALU_DEP_2)
	v_ashrrev_i32_e32 v61, 31, v60
	v_mul_lo_u16 v63, 0xb3, v63
	s_delay_alu instid0(VALU_DEP_2) | instskip(NEXT) | instid1(VALU_DEP_2)
	v_lshlrev_b64_e32 v[60:61], 2, v[60:61]
	v_lshrrev_b16 v63, 12, v63
	s_delay_alu instid0(VALU_DEP_2) | instskip(SKIP_1) | instid1(VALU_DEP_3)
	v_add_co_u32 v60, vcc_lo, s4, v60
	s_wait_alu 0xfffd
	v_add_co_ci_u32_e64 v61, null, s5, v61, vcc_lo
	s_delay_alu instid0(VALU_DEP_3) | instskip(NEXT) | instid1(VALU_DEP_1)
	v_mul_lo_u16 v64, v63, 46
	v_sub_nc_u16 v65, v62, v64
	v_and_b32_e32 v62, 0xffff, v63
	s_delay_alu instid0(VALU_DEP_1) | instskip(NEXT) | instid1(VALU_DEP_3)
	v_add_nc_u32_e32 v87, v86, v62
	v_and_b32_e32 v62, 0xff, v65
	v_or_b32_e32 v65, 0xffffff80, v65
	s_delay_alu instid0(VALU_DEP_2) | instskip(NEXT) | instid1(VALU_DEP_2)
	v_mad_co_u64_u32 v[63:64], null, v87, s6, v[62:63]
	v_lshrrev_b16 v66, 1, v65
	s_delay_alu instid0(VALU_DEP_1) | instskip(NEXT) | instid1(VALU_DEP_3)
	v_and_b32_e32 v66, 0x7f, v66
	v_ashrrev_i32_e32 v64, 31, v63
	s_delay_alu instid0(VALU_DEP_2) | instskip(NEXT) | instid1(VALU_DEP_2)
	v_mul_lo_u16 v66, 0xb3, v66
	v_lshlrev_b64_e32 v[63:64], 2, v[63:64]
	s_delay_alu instid0(VALU_DEP_2) | instskip(NEXT) | instid1(VALU_DEP_2)
	v_lshrrev_b16 v66, 12, v66
	v_add_co_u32 v63, vcc_lo, s4, v63
	s_wait_alu 0xfffd
	s_delay_alu instid0(VALU_DEP_3) | instskip(NEXT) | instid1(VALU_DEP_3)
	v_add_co_ci_u32_e64 v64, null, s5, v64, vcc_lo
	v_mul_lo_u16 v67, v66, 46
	s_delay_alu instid0(VALU_DEP_1) | instskip(SKIP_1) | instid1(VALU_DEP_1)
	v_sub_nc_u16 v88, v65, v67
	v_and_b32_e32 v65, 0xffff, v66
	v_add_nc_u32_e32 v89, v87, v65
	s_delay_alu instid0(VALU_DEP_3) | instskip(NEXT) | instid1(VALU_DEP_1)
	v_and_b32_e32 v65, 0xff, v88
	v_mad_co_u64_u32 v[66:67], null, v89, s6, v[65:66]
	s_delay_alu instid0(VALU_DEP_1) | instskip(NEXT) | instid1(VALU_DEP_1)
	v_ashrrev_i32_e32 v67, 31, v66
	v_lshlrev_b64_e32 v[66:67], 2, v[66:67]
	s_delay_alu instid0(VALU_DEP_1) | instskip(SKIP_1) | instid1(VALU_DEP_2)
	v_add_co_u32 v66, vcc_lo, s4, v66
	s_wait_alu 0xfffd
	v_add_co_ci_u32_e64 v67, null, s5, v67, vcc_lo
	s_clause 0x12
	global_load_b32 v13, v[13:14], off
	global_load_b32 v14, v[16:17], off
	;; [unrolled: 1-line block ×19, first 2 shown]
	s_wait_loadcnt 0x16
	ds_store_b32 v1, v68
	v_lshlrev_b32_e32 v1, 2, v4
	v_lshlrev_b32_e32 v4, 2, v5
	v_mul_lo_u32 v5, 0xb8, v12
	s_delay_alu instid0(VALU_DEP_3) | instskip(NEXT) | instid1(VALU_DEP_3)
	v_add3_u32 v1, 0, v9, v1
	v_add3_u32 v4, 0, v10, v4
	v_lshlrev_b32_e32 v9, 2, v62
	v_lshlrev_b32_e32 v10, 2, v65
	s_wait_loadcnt 0x15
	ds_store_b32 v3, v69
	s_wait_loadcnt 0x14
	ds_store_b32 v2, v70
	;; [unrolled: 2-line block ×4, first 2 shown]
	v_mul_lo_u32 v2, 0xb8, v72
	v_mul_lo_u32 v4, 0xb8, v73
	v_add3_u32 v1, 0, v5, v6
	v_lshlrev_b32_e32 v3, 2, v15
	v_lshlrev_b32_e32 v5, 2, v20
	v_mul_lo_u32 v6, 0xb8, v74
	s_wait_loadcnt 0x11
	ds_store_b32 v1, v14
	v_lshlrev_b32_e32 v1, 2, v23
	v_add3_u32 v2, 0, v2, v3
	v_add3_u32 v3, 0, v4, v5
	v_mul_lo_u32 v4, 0xb8, v76
	v_add3_u32 v5, 0, v7, v8
	v_add3_u32 v1, 0, v6, v1
	v_lshlrev_b32_e32 v6, 2, v29
	s_wait_loadcnt 0x10
	ds_store_b32 v2, v16
	s_wait_loadcnt 0xf
	ds_store_b32 v3, v17
	;; [unrolled: 2-line block ×4, first 2 shown]
	v_mul_lo_u32 v2, 0xb8, v77
	v_mul_lo_u32 v5, 0xb8, v79
	v_add3_u32 v1, 0, v4, v6
	v_mul_lo_u32 v4, 0xb8, v78
	v_mul_lo_u32 v7, 0xb8, v80
	v_lshlrev_b32_e32 v3, 2, v32
	v_lshlrev_b32_e32 v6, 2, v35
	;; [unrolled: 1-line block ×3, first 2 shown]
	s_wait_loadcnt 0xc
	ds_store_b32 v1, v21
	v_lshlrev_b32_e32 v1, 2, v41
	v_add3_u32 v2, 0, v2, v3
	v_add3_u32 v3, 0, v4, v6
	;; [unrolled: 1-line block ×3, first 2 shown]
	v_mul_lo_u32 v5, 0xb8, v81
	v_add3_u32 v1, 0, v7, v1
	s_wait_loadcnt 0xb
	ds_store_b32 v2, v22
	s_wait_loadcnt 0xa
	ds_store_b32 v3, v24
	;; [unrolled: 2-line block ×4, first 2 shown]
	v_or_b32_e32 v1, 0xffffff80, v88
	v_lshlrev_b32_e32 v2, 2, v42
	v_mul_lo_u32 v3, 0xb8, v82
	v_mul_lo_u32 v7, 0xb8, v84
	v_lshlrev_b32_e32 v4, 2, v47
	v_lshrrev_b16 v6, 1, v1
	v_add3_u32 v2, 0, v5, v2
	v_mul_lo_u32 v5, 0xb8, v83
	v_lshlrev_b32_e32 v8, 2, v50
	s_delay_alu instid0(VALU_DEP_4)
	v_and_b32_e32 v6, 0x7f, v6
	s_wait_loadcnt 0x7
	ds_store_b32 v2, v28
	v_lshlrev_b32_e32 v2, 2, v53
	v_add3_u32 v3, 0, v3, v4
	v_mul_lo_u16 v6, 0xb3, v6
	v_add3_u32 v4, 0, v5, v8
	v_mul_lo_u32 v5, 0xb8, v85
	v_add3_u32 v2, 0, v7, v2
	v_lshlrev_b32_e32 v7, 2, v56
	s_wait_loadcnt 0x6
	ds_store_b32 v3, v30
	s_wait_loadcnt 0x5
	ds_store_b32 v4, v31
	;; [unrolled: 2-line block ×3, first 2 shown]
	v_lshrrev_b16 v2, 12, v6
	v_mul_lo_u32 v4, 0xb8, v86
	v_mul_lo_u32 v6, 0xb8, v89
	v_add3_u32 v3, 0, v5, v7
	v_mul_lo_u32 v5, 0xb8, v87
	v_mul_lo_u16 v7, v2, 46
	v_and_b32_e32 v2, 0xffff, v2
	v_lshlrev_b32_e32 v8, 2, v59
	s_delay_alu instid0(VALU_DEP_3) | instskip(NEXT) | instid1(VALU_DEP_3)
	v_sub_nc_u16 v1, v1, v7
	v_add_nc_u32_e32 v2, v89, v2
	s_delay_alu instid0(VALU_DEP_3)
	v_add3_u32 v4, 0, v4, v8
	v_add3_u32 v5, 0, v5, v9
	;; [unrolled: 1-line block ×3, first 2 shown]
	v_and_b32_e32 v1, 0xff, v1
	s_wait_loadcnt 0x3
	ds_store_b32 v3, v34
	s_wait_loadcnt 0x2
	ds_store_b32 v4, v36
	;; [unrolled: 2-line block ×4, first 2 shown]
	v_cmpx_gt_u32_e32 0x80, v2
	s_cbranch_execz .LBB9_2
; %bb.1:
	v_mad_co_u64_u32 v[3:4], null, v2, s6, v[1:2]
	v_lshlrev_b32_e32 v5, 2, v1
	s_delay_alu instid0(VALU_DEP_2) | instskip(NEXT) | instid1(VALU_DEP_1)
	v_ashrrev_i32_e32 v4, 31, v3
	v_lshlrev_b64_e32 v[3:4], 2, v[3:4]
	s_delay_alu instid0(VALU_DEP_1) | instskip(SKIP_1) | instid1(VALU_DEP_2)
	v_add_co_u32 v3, vcc_lo, s4, v3
	s_wait_alu 0xfffd
	v_add_co_ci_u32_e64 v4, null, s5, v4, vcc_lo
	global_load_b32 v3, v[3:4], off
	v_mul_lo_u32 v4, 0xb8, v2
	s_delay_alu instid0(VALU_DEP_1)
	v_add3_u32 v4, 0, v4, v5
	s_wait_loadcnt 0x0
	ds_store_b32 v4, v3
.LBB9_2:
	s_or_b32 exec_lo, exec_lo, s8
	v_or_b32_e32 v1, 0xffffff80, v1
	s_mov_b32 s8, exec_lo
	s_delay_alu instid0(VALU_DEP_1) | instskip(NEXT) | instid1(VALU_DEP_1)
	v_lshrrev_b16 v3, 1, v1
	v_and_b32_e32 v3, 0x7f, v3
	s_delay_alu instid0(VALU_DEP_1) | instskip(NEXT) | instid1(VALU_DEP_1)
	v_mul_lo_u16 v3, 0xb3, v3
	v_lshrrev_b16 v3, 12, v3
	s_delay_alu instid0(VALU_DEP_1) | instskip(SKIP_1) | instid1(VALU_DEP_2)
	v_mul_lo_u16 v4, v3, 46
	v_and_b32_e32 v3, 0xffff, v3
	v_sub_nc_u16 v1, v1, v4
	s_delay_alu instid0(VALU_DEP_2) | instskip(NEXT) | instid1(VALU_DEP_2)
	v_add_nc_u32_e32 v2, v2, v3
	v_and_b32_e32 v1, 0xff, v1
	s_delay_alu instid0(VALU_DEP_2)
	v_cmpx_gt_u32_e32 0x80, v2
	s_cbranch_execz .LBB9_4
; %bb.3:
	s_delay_alu instid0(VALU_DEP_2) | instskip(SKIP_1) | instid1(VALU_DEP_2)
	v_mad_co_u64_u32 v[3:4], null, v2, s6, v[1:2]
	v_lshlrev_b32_e32 v5, 2, v1
	v_ashrrev_i32_e32 v4, 31, v3
	s_delay_alu instid0(VALU_DEP_1) | instskip(NEXT) | instid1(VALU_DEP_1)
	v_lshlrev_b64_e32 v[3:4], 2, v[3:4]
	v_add_co_u32 v3, vcc_lo, s4, v3
	s_wait_alu 0xfffd
	s_delay_alu instid0(VALU_DEP_2) | instskip(SKIP_2) | instid1(VALU_DEP_1)
	v_add_co_ci_u32_e64 v4, null, s5, v4, vcc_lo
	global_load_b32 v3, v[3:4], off
	v_mul_lo_u32 v4, 0xb8, v2
	v_add3_u32 v4, 0, v4, v5
	s_wait_loadcnt 0x0
	ds_store_b32 v4, v3
.LBB9_4:
	s_or_b32 exec_lo, exec_lo, s8
	s_delay_alu instid0(VALU_DEP_2) | instskip(SKIP_1) | instid1(VALU_DEP_1)
	v_or_b32_e32 v1, 0xffffff80, v1
	s_mov_b32 s8, exec_lo
	v_lshrrev_b16 v3, 1, v1
	s_delay_alu instid0(VALU_DEP_1) | instskip(NEXT) | instid1(VALU_DEP_1)
	v_and_b32_e32 v3, 0x7f, v3
	v_mul_lo_u16 v3, 0xb3, v3
	s_delay_alu instid0(VALU_DEP_1) | instskip(NEXT) | instid1(VALU_DEP_1)
	v_lshrrev_b16 v3, 12, v3
	v_mul_lo_u16 v4, v3, 46
	v_and_b32_e32 v3, 0xffff, v3
	s_delay_alu instid0(VALU_DEP_2) | instskip(NEXT) | instid1(VALU_DEP_2)
	v_sub_nc_u16 v1, v1, v4
	v_add_nc_u32_e32 v2, v2, v3
	s_delay_alu instid0(VALU_DEP_2) | instskip(NEXT) | instid1(VALU_DEP_2)
	v_and_b32_e32 v1, 0xff, v1
	v_cmpx_gt_u32_e32 0x80, v2
	s_cbranch_execz .LBB9_6
; %bb.5:
	s_delay_alu instid0(VALU_DEP_2) | instskip(SKIP_1) | instid1(VALU_DEP_2)
	v_mad_co_u64_u32 v[3:4], null, v2, s6, v[1:2]
	v_lshlrev_b32_e32 v5, 2, v1
	v_ashrrev_i32_e32 v4, 31, v3
	s_delay_alu instid0(VALU_DEP_1) | instskip(NEXT) | instid1(VALU_DEP_1)
	v_lshlrev_b64_e32 v[3:4], 2, v[3:4]
	v_add_co_u32 v3, vcc_lo, s4, v3
	s_wait_alu 0xfffd
	s_delay_alu instid0(VALU_DEP_2) | instskip(SKIP_2) | instid1(VALU_DEP_1)
	v_add_co_ci_u32_e64 v4, null, s5, v4, vcc_lo
	global_load_b32 v3, v[3:4], off
	v_mul_lo_u32 v4, 0xb8, v2
	v_add3_u32 v4, 0, v4, v5
	s_wait_loadcnt 0x0
	ds_store_b32 v4, v3
.LBB9_6:
	s_or_b32 exec_lo, exec_lo, s8
	s_delay_alu instid0(VALU_DEP_2) | instskip(SKIP_1) | instid1(VALU_DEP_1)
	v_or_b32_e32 v1, 0xffffff80, v1
	s_mov_b32 s8, exec_lo
	v_lshrrev_b16 v3, 1, v1
	s_delay_alu instid0(VALU_DEP_1) | instskip(NEXT) | instid1(VALU_DEP_1)
	v_and_b32_e32 v3, 0x7f, v3
	v_mul_lo_u16 v3, 0xb3, v3
	s_delay_alu instid0(VALU_DEP_1) | instskip(NEXT) | instid1(VALU_DEP_1)
	v_lshrrev_b16 v3, 12, v3
	v_mul_lo_u16 v4, v3, 46
	v_and_b32_e32 v3, 0xffff, v3
	s_delay_alu instid0(VALU_DEP_2) | instskip(NEXT) | instid1(VALU_DEP_2)
	v_sub_nc_u16 v1, v1, v4
	v_add_nc_u32_e32 v2, v2, v3
	s_delay_alu instid0(VALU_DEP_2) | instskip(NEXT) | instid1(VALU_DEP_2)
	v_and_b32_e32 v1, 0xff, v1
	v_cmpx_gt_u32_e32 0x80, v2
	s_cbranch_execz .LBB9_8
; %bb.7:
	s_delay_alu instid0(VALU_DEP_2) | instskip(SKIP_1) | instid1(VALU_DEP_2)
	v_mad_co_u64_u32 v[3:4], null, v2, s6, v[1:2]
	v_lshlrev_b32_e32 v5, 2, v1
	v_ashrrev_i32_e32 v4, 31, v3
	s_delay_alu instid0(VALU_DEP_1) | instskip(NEXT) | instid1(VALU_DEP_1)
	v_lshlrev_b64_e32 v[3:4], 2, v[3:4]
	v_add_co_u32 v3, vcc_lo, s4, v3
	s_wait_alu 0xfffd
	s_delay_alu instid0(VALU_DEP_2) | instskip(SKIP_2) | instid1(VALU_DEP_1)
	v_add_co_ci_u32_e64 v4, null, s5, v4, vcc_lo
	global_load_b32 v3, v[3:4], off
	v_mul_lo_u32 v4, 0xb8, v2
	v_add3_u32 v4, 0, v4, v5
	s_wait_loadcnt 0x0
	ds_store_b32 v4, v3
.LBB9_8:
	s_or_b32 exec_lo, exec_lo, s8
	s_delay_alu instid0(VALU_DEP_2) | instskip(SKIP_1) | instid1(VALU_DEP_1)
	v_or_b32_e32 v1, 0xffffff80, v1
	s_mov_b32 s8, exec_lo
	v_lshrrev_b16 v3, 1, v1
	s_delay_alu instid0(VALU_DEP_1) | instskip(NEXT) | instid1(VALU_DEP_1)
	v_and_b32_e32 v3, 0x7f, v3
	v_mul_lo_u16 v3, 0xb3, v3
	s_delay_alu instid0(VALU_DEP_1) | instskip(NEXT) | instid1(VALU_DEP_1)
	v_lshrrev_b16 v3, 12, v3
	v_mul_lo_u16 v4, v3, 46
	v_and_b32_e32 v3, 0xffff, v3
	s_delay_alu instid0(VALU_DEP_2) | instskip(NEXT) | instid1(VALU_DEP_2)
	v_sub_nc_u16 v1, v1, v4
	v_add_nc_u32_e32 v2, v2, v3
	s_delay_alu instid0(VALU_DEP_2) | instskip(NEXT) | instid1(VALU_DEP_2)
	v_and_b32_e32 v1, 0xff, v1
	v_cmpx_gt_u32_e32 0x80, v2
	s_cbranch_execz .LBB9_10
; %bb.9:
	s_delay_alu instid0(VALU_DEP_2) | instskip(SKIP_1) | instid1(VALU_DEP_2)
	v_mad_co_u64_u32 v[3:4], null, v2, s6, v[1:2]
	v_lshlrev_b32_e32 v5, 2, v1
	v_ashrrev_i32_e32 v4, 31, v3
	s_delay_alu instid0(VALU_DEP_1) | instskip(NEXT) | instid1(VALU_DEP_1)
	v_lshlrev_b64_e32 v[3:4], 2, v[3:4]
	v_add_co_u32 v3, vcc_lo, s4, v3
	s_wait_alu 0xfffd
	s_delay_alu instid0(VALU_DEP_2) | instskip(SKIP_2) | instid1(VALU_DEP_1)
	v_add_co_ci_u32_e64 v4, null, s5, v4, vcc_lo
	global_load_b32 v3, v[3:4], off
	v_mul_lo_u32 v4, 0xb8, v2
	v_add3_u32 v4, 0, v4, v5
	s_wait_loadcnt 0x0
	ds_store_b32 v4, v3
.LBB9_10:
	s_or_b32 exec_lo, exec_lo, s8
	s_delay_alu instid0(VALU_DEP_2) | instskip(SKIP_1) | instid1(VALU_DEP_1)
	v_or_b32_e32 v1, 0xffffff80, v1
	s_mov_b32 s8, exec_lo
	v_lshrrev_b16 v3, 1, v1
	s_delay_alu instid0(VALU_DEP_1) | instskip(NEXT) | instid1(VALU_DEP_1)
	v_and_b32_e32 v3, 0x7f, v3
	v_mul_lo_u16 v3, 0xb3, v3
	s_delay_alu instid0(VALU_DEP_1) | instskip(NEXT) | instid1(VALU_DEP_1)
	v_lshrrev_b16 v3, 12, v3
	v_mul_lo_u16 v4, v3, 46
	v_and_b32_e32 v3, 0xffff, v3
	s_delay_alu instid0(VALU_DEP_2) | instskip(NEXT) | instid1(VALU_DEP_2)
	v_sub_nc_u16 v1, v1, v4
	v_add_nc_u32_e32 v2, v2, v3
	s_delay_alu instid0(VALU_DEP_2) | instskip(NEXT) | instid1(VALU_DEP_2)
	v_and_b32_e32 v1, 0xff, v1
	v_cmpx_gt_u32_e32 0x80, v2
	s_cbranch_execz .LBB9_12
; %bb.11:
	s_delay_alu instid0(VALU_DEP_2) | instskip(SKIP_1) | instid1(VALU_DEP_2)
	v_mad_co_u64_u32 v[3:4], null, v2, s6, v[1:2]
	v_lshlrev_b32_e32 v5, 2, v1
	v_ashrrev_i32_e32 v4, 31, v3
	s_delay_alu instid0(VALU_DEP_1) | instskip(NEXT) | instid1(VALU_DEP_1)
	v_lshlrev_b64_e32 v[3:4], 2, v[3:4]
	v_add_co_u32 v3, vcc_lo, s4, v3
	s_wait_alu 0xfffd
	s_delay_alu instid0(VALU_DEP_2) | instskip(SKIP_2) | instid1(VALU_DEP_1)
	v_add_co_ci_u32_e64 v4, null, s5, v4, vcc_lo
	global_load_b32 v3, v[3:4], off
	v_mul_lo_u32 v4, 0xb8, v2
	v_add3_u32 v4, 0, v4, v5
	s_wait_loadcnt 0x0
	ds_store_b32 v4, v3
.LBB9_12:
	s_or_b32 exec_lo, exec_lo, s8
	s_delay_alu instid0(VALU_DEP_2) | instskip(SKIP_1) | instid1(VALU_DEP_1)
	v_or_b32_e32 v1, 0xffffff80, v1
	s_mov_b32 s8, exec_lo
	v_lshrrev_b16 v3, 1, v1
	s_delay_alu instid0(VALU_DEP_1) | instskip(NEXT) | instid1(VALU_DEP_1)
	v_and_b32_e32 v3, 0x7f, v3
	v_mul_lo_u16 v3, 0xb3, v3
	s_delay_alu instid0(VALU_DEP_1) | instskip(NEXT) | instid1(VALU_DEP_1)
	v_lshrrev_b16 v3, 12, v3
	v_mul_lo_u16 v4, v3, 46
	v_and_b32_e32 v3, 0xffff, v3
	s_delay_alu instid0(VALU_DEP_2) | instskip(NEXT) | instid1(VALU_DEP_2)
	v_sub_nc_u16 v1, v1, v4
	v_add_nc_u32_e32 v2, v2, v3
	s_delay_alu instid0(VALU_DEP_2) | instskip(NEXT) | instid1(VALU_DEP_2)
	v_and_b32_e32 v1, 0xff, v1
	v_cmpx_gt_u32_e32 0x80, v2
	s_cbranch_execz .LBB9_14
; %bb.13:
	s_delay_alu instid0(VALU_DEP_2) | instskip(SKIP_1) | instid1(VALU_DEP_2)
	v_mad_co_u64_u32 v[3:4], null, v2, s6, v[1:2]
	v_lshlrev_b32_e32 v5, 2, v1
	v_ashrrev_i32_e32 v4, 31, v3
	s_delay_alu instid0(VALU_DEP_1) | instskip(NEXT) | instid1(VALU_DEP_1)
	v_lshlrev_b64_e32 v[3:4], 2, v[3:4]
	v_add_co_u32 v3, vcc_lo, s4, v3
	s_wait_alu 0xfffd
	s_delay_alu instid0(VALU_DEP_2) | instskip(SKIP_2) | instid1(VALU_DEP_1)
	v_add_co_ci_u32_e64 v4, null, s5, v4, vcc_lo
	global_load_b32 v3, v[3:4], off
	v_mul_lo_u32 v4, 0xb8, v2
	v_add3_u32 v4, 0, v4, v5
	s_wait_loadcnt 0x0
	ds_store_b32 v4, v3
.LBB9_14:
	s_or_b32 exec_lo, exec_lo, s8
	s_delay_alu instid0(VALU_DEP_2) | instskip(SKIP_1) | instid1(VALU_DEP_1)
	v_or_b32_e32 v1, 0xffffff80, v1
	s_mov_b32 s8, exec_lo
	v_lshrrev_b16 v3, 1, v1
	s_delay_alu instid0(VALU_DEP_1) | instskip(NEXT) | instid1(VALU_DEP_1)
	v_and_b32_e32 v3, 0x7f, v3
	v_mul_lo_u16 v3, 0xb3, v3
	s_delay_alu instid0(VALU_DEP_1) | instskip(NEXT) | instid1(VALU_DEP_1)
	v_lshrrev_b16 v3, 12, v3
	v_mul_lo_u16 v4, v3, 46
	v_and_b32_e32 v3, 0xffff, v3
	s_delay_alu instid0(VALU_DEP_2) | instskip(NEXT) | instid1(VALU_DEP_2)
	v_sub_nc_u16 v1, v1, v4
	v_add_nc_u32_e32 v2, v2, v3
	s_delay_alu instid0(VALU_DEP_2) | instskip(NEXT) | instid1(VALU_DEP_2)
	v_and_b32_e32 v1, 0xff, v1
	v_cmpx_gt_u32_e32 0x80, v2
	s_cbranch_execz .LBB9_16
; %bb.15:
	s_delay_alu instid0(VALU_DEP_2) | instskip(SKIP_1) | instid1(VALU_DEP_2)
	v_mad_co_u64_u32 v[3:4], null, v2, s6, v[1:2]
	v_lshlrev_b32_e32 v5, 2, v1
	v_ashrrev_i32_e32 v4, 31, v3
	s_delay_alu instid0(VALU_DEP_1) | instskip(NEXT) | instid1(VALU_DEP_1)
	v_lshlrev_b64_e32 v[3:4], 2, v[3:4]
	v_add_co_u32 v3, vcc_lo, s4, v3
	s_wait_alu 0xfffd
	s_delay_alu instid0(VALU_DEP_2) | instskip(SKIP_2) | instid1(VALU_DEP_1)
	v_add_co_ci_u32_e64 v4, null, s5, v4, vcc_lo
	global_load_b32 v3, v[3:4], off
	v_mul_lo_u32 v4, 0xb8, v2
	v_add3_u32 v4, 0, v4, v5
	s_wait_loadcnt 0x0
	ds_store_b32 v4, v3
.LBB9_16:
	s_or_b32 exec_lo, exec_lo, s8
	s_delay_alu instid0(VALU_DEP_2) | instskip(SKIP_1) | instid1(VALU_DEP_1)
	v_or_b32_e32 v1, 0xffffff80, v1
	s_mov_b32 s8, exec_lo
	v_lshrrev_b16 v3, 1, v1
	s_delay_alu instid0(VALU_DEP_1) | instskip(NEXT) | instid1(VALU_DEP_1)
	v_and_b32_e32 v3, 0x7f, v3
	v_mul_lo_u16 v3, 0xb3, v3
	s_delay_alu instid0(VALU_DEP_1) | instskip(NEXT) | instid1(VALU_DEP_1)
	v_lshrrev_b16 v3, 12, v3
	v_mul_lo_u16 v4, v3, 46
	v_and_b32_e32 v3, 0xffff, v3
	s_delay_alu instid0(VALU_DEP_2) | instskip(NEXT) | instid1(VALU_DEP_2)
	v_sub_nc_u16 v1, v1, v4
	v_add_nc_u32_e32 v2, v2, v3
	s_delay_alu instid0(VALU_DEP_2) | instskip(NEXT) | instid1(VALU_DEP_2)
	v_and_b32_e32 v1, 0xff, v1
	v_cmpx_gt_u32_e32 0x80, v2
	s_cbranch_execz .LBB9_18
; %bb.17:
	s_delay_alu instid0(VALU_DEP_2) | instskip(SKIP_1) | instid1(VALU_DEP_2)
	v_mad_co_u64_u32 v[3:4], null, v2, s6, v[1:2]
	v_lshlrev_b32_e32 v5, 2, v1
	v_ashrrev_i32_e32 v4, 31, v3
	s_delay_alu instid0(VALU_DEP_1) | instskip(NEXT) | instid1(VALU_DEP_1)
	v_lshlrev_b64_e32 v[3:4], 2, v[3:4]
	v_add_co_u32 v3, vcc_lo, s4, v3
	s_wait_alu 0xfffd
	s_delay_alu instid0(VALU_DEP_2) | instskip(SKIP_2) | instid1(VALU_DEP_1)
	v_add_co_ci_u32_e64 v4, null, s5, v4, vcc_lo
	global_load_b32 v3, v[3:4], off
	v_mul_lo_u32 v4, 0xb8, v2
	v_add3_u32 v4, 0, v4, v5
	s_wait_loadcnt 0x0
	ds_store_b32 v4, v3
.LBB9_18:
	s_or_b32 exec_lo, exec_lo, s8
	s_delay_alu instid0(VALU_DEP_2) | instskip(SKIP_1) | instid1(VALU_DEP_1)
	v_or_b32_e32 v1, 0xffffff80, v1
	s_mov_b32 s8, exec_lo
	v_lshrrev_b16 v3, 1, v1
	s_delay_alu instid0(VALU_DEP_1) | instskip(NEXT) | instid1(VALU_DEP_1)
	v_and_b32_e32 v3, 0x7f, v3
	v_mul_lo_u16 v3, 0xb3, v3
	s_delay_alu instid0(VALU_DEP_1) | instskip(NEXT) | instid1(VALU_DEP_1)
	v_lshrrev_b16 v3, 12, v3
	v_mul_lo_u16 v4, v3, 46
	v_and_b32_e32 v3, 0xffff, v3
	s_delay_alu instid0(VALU_DEP_2) | instskip(NEXT) | instid1(VALU_DEP_2)
	v_sub_nc_u16 v1, v1, v4
	v_add_nc_u32_e32 v2, v2, v3
	s_delay_alu instid0(VALU_DEP_2) | instskip(NEXT) | instid1(VALU_DEP_2)
	v_and_b32_e32 v1, 0xff, v1
	v_cmpx_gt_u32_e32 0x80, v2
	s_cbranch_execz .LBB9_20
; %bb.19:
	s_delay_alu instid0(VALU_DEP_2) | instskip(SKIP_1) | instid1(VALU_DEP_2)
	v_mad_co_u64_u32 v[3:4], null, v2, s6, v[1:2]
	v_lshlrev_b32_e32 v5, 2, v1
	v_ashrrev_i32_e32 v4, 31, v3
	s_delay_alu instid0(VALU_DEP_1) | instskip(NEXT) | instid1(VALU_DEP_1)
	v_lshlrev_b64_e32 v[3:4], 2, v[3:4]
	v_add_co_u32 v3, vcc_lo, s4, v3
	s_wait_alu 0xfffd
	s_delay_alu instid0(VALU_DEP_2) | instskip(SKIP_2) | instid1(VALU_DEP_1)
	v_add_co_ci_u32_e64 v4, null, s5, v4, vcc_lo
	global_load_b32 v3, v[3:4], off
	v_mul_lo_u32 v4, 0xb8, v2
	v_add3_u32 v4, 0, v4, v5
	s_wait_loadcnt 0x0
	ds_store_b32 v4, v3
.LBB9_20:
	s_or_b32 exec_lo, exec_lo, s8
	s_delay_alu instid0(VALU_DEP_2) | instskip(SKIP_1) | instid1(VALU_DEP_1)
	v_or_b32_e32 v1, 0xffffff80, v1
	s_mov_b32 s8, exec_lo
	v_lshrrev_b16 v3, 1, v1
	s_delay_alu instid0(VALU_DEP_1) | instskip(NEXT) | instid1(VALU_DEP_1)
	v_and_b32_e32 v3, 0x7f, v3
	v_mul_lo_u16 v3, 0xb3, v3
	s_delay_alu instid0(VALU_DEP_1) | instskip(NEXT) | instid1(VALU_DEP_1)
	v_lshrrev_b16 v3, 12, v3
	v_mul_lo_u16 v4, v3, 46
	v_and_b32_e32 v3, 0xffff, v3
	s_delay_alu instid0(VALU_DEP_2) | instskip(NEXT) | instid1(VALU_DEP_2)
	v_sub_nc_u16 v1, v1, v4
	v_add_nc_u32_e32 v2, v2, v3
	s_delay_alu instid0(VALU_DEP_2) | instskip(NEXT) | instid1(VALU_DEP_2)
	v_and_b32_e32 v1, 0xff, v1
	v_cmpx_gt_u32_e32 0x80, v2
	s_cbranch_execz .LBB9_22
; %bb.21:
	s_delay_alu instid0(VALU_DEP_2) | instskip(SKIP_1) | instid1(VALU_DEP_2)
	v_mad_co_u64_u32 v[3:4], null, v2, s6, v[1:2]
	v_lshlrev_b32_e32 v5, 2, v1
	v_ashrrev_i32_e32 v4, 31, v3
	s_delay_alu instid0(VALU_DEP_1) | instskip(NEXT) | instid1(VALU_DEP_1)
	v_lshlrev_b64_e32 v[3:4], 2, v[3:4]
	v_add_co_u32 v3, vcc_lo, s4, v3
	s_wait_alu 0xfffd
	s_delay_alu instid0(VALU_DEP_2) | instskip(SKIP_2) | instid1(VALU_DEP_1)
	v_add_co_ci_u32_e64 v4, null, s5, v4, vcc_lo
	global_load_b32 v3, v[3:4], off
	v_mul_lo_u32 v4, 0xb8, v2
	v_add3_u32 v4, 0, v4, v5
	s_wait_loadcnt 0x0
	ds_store_b32 v4, v3
.LBB9_22:
	s_or_b32 exec_lo, exec_lo, s8
	s_delay_alu instid0(VALU_DEP_2) | instskip(SKIP_1) | instid1(VALU_DEP_1)
	v_or_b32_e32 v1, 0xffffff80, v1
	s_mov_b32 s8, exec_lo
	v_lshrrev_b16 v3, 1, v1
	s_delay_alu instid0(VALU_DEP_1) | instskip(NEXT) | instid1(VALU_DEP_1)
	v_and_b32_e32 v3, 0x7f, v3
	v_mul_lo_u16 v3, 0xb3, v3
	s_delay_alu instid0(VALU_DEP_1) | instskip(NEXT) | instid1(VALU_DEP_1)
	v_lshrrev_b16 v3, 12, v3
	v_mul_lo_u16 v4, v3, 46
	v_and_b32_e32 v3, 0xffff, v3
	s_delay_alu instid0(VALU_DEP_2) | instskip(NEXT) | instid1(VALU_DEP_2)
	v_sub_nc_u16 v1, v1, v4
	v_add_nc_u32_e32 v2, v2, v3
	s_delay_alu instid0(VALU_DEP_2) | instskip(NEXT) | instid1(VALU_DEP_2)
	v_and_b32_e32 v1, 0xff, v1
	v_cmpx_gt_u32_e32 0x80, v2
	s_cbranch_execz .LBB9_24
; %bb.23:
	s_delay_alu instid0(VALU_DEP_2) | instskip(SKIP_1) | instid1(VALU_DEP_2)
	v_mad_co_u64_u32 v[3:4], null, v2, s6, v[1:2]
	v_lshlrev_b32_e32 v5, 2, v1
	v_ashrrev_i32_e32 v4, 31, v3
	s_delay_alu instid0(VALU_DEP_1) | instskip(NEXT) | instid1(VALU_DEP_1)
	v_lshlrev_b64_e32 v[3:4], 2, v[3:4]
	v_add_co_u32 v3, vcc_lo, s4, v3
	s_wait_alu 0xfffd
	s_delay_alu instid0(VALU_DEP_2) | instskip(SKIP_2) | instid1(VALU_DEP_1)
	v_add_co_ci_u32_e64 v4, null, s5, v4, vcc_lo
	global_load_b32 v3, v[3:4], off
	v_mul_lo_u32 v4, 0xb8, v2
	v_add3_u32 v4, 0, v4, v5
	s_wait_loadcnt 0x0
	ds_store_b32 v4, v3
.LBB9_24:
	s_or_b32 exec_lo, exec_lo, s8
	s_delay_alu instid0(SALU_CYCLE_1)
	s_mov_b32 s8, exec_lo
	v_cmpx_gt_u32_e32 0x380, v0
	s_cbranch_execz .LBB9_45
; %bb.25:
	v_or_b32_e32 v1, 0xffffff80, v1
	s_mov_b32 s9, exec_lo
	s_delay_alu instid0(VALU_DEP_1) | instskip(NEXT) | instid1(VALU_DEP_1)
	v_lshrrev_b16 v3, 1, v1
	v_and_b32_e32 v3, 0x7f, v3
	s_delay_alu instid0(VALU_DEP_1) | instskip(NEXT) | instid1(VALU_DEP_1)
	v_mul_lo_u16 v3, 0xb3, v3
	v_lshrrev_b16 v3, 12, v3
	s_delay_alu instid0(VALU_DEP_1) | instskip(SKIP_1) | instid1(VALU_DEP_2)
	v_mul_lo_u16 v4, v3, 46
	v_and_b32_e32 v3, 0xffff, v3
	v_sub_nc_u16 v1, v1, v4
	s_delay_alu instid0(VALU_DEP_2) | instskip(NEXT) | instid1(VALU_DEP_2)
	v_add_nc_u32_e32 v2, v2, v3
	v_and_b32_e32 v1, 0xff, v1
	s_delay_alu instid0(VALU_DEP_2)
	v_cmpx_gt_u32_e32 0x80, v2
	s_cbranch_execz .LBB9_27
; %bb.26:
	s_delay_alu instid0(VALU_DEP_2) | instskip(SKIP_1) | instid1(VALU_DEP_2)
	v_mad_co_u64_u32 v[3:4], null, v2, s6, v[1:2]
	v_lshlrev_b32_e32 v5, 2, v1
	v_ashrrev_i32_e32 v4, 31, v3
	s_delay_alu instid0(VALU_DEP_1) | instskip(NEXT) | instid1(VALU_DEP_1)
	v_lshlrev_b64_e32 v[3:4], 2, v[3:4]
	v_add_co_u32 v3, vcc_lo, s4, v3
	s_wait_alu 0xfffd
	s_delay_alu instid0(VALU_DEP_2) | instskip(SKIP_2) | instid1(VALU_DEP_1)
	v_add_co_ci_u32_e64 v4, null, s5, v4, vcc_lo
	global_load_b32 v3, v[3:4], off
	v_mul_lo_u32 v4, 0xb8, v2
	v_add3_u32 v4, 0, v4, v5
	s_wait_loadcnt 0x0
	ds_store_b32 v4, v3
.LBB9_27:
	s_or_b32 exec_lo, exec_lo, s9
	v_cmp_gt_u32_e32 vcc_lo, 0x300, v0
	s_and_b32 exec_lo, exec_lo, vcc_lo
	s_cbranch_execz .LBB9_45
; %bb.28:
	v_or_b32_e32 v1, 0xffffff80, v1
	s_mov_b32 s9, exec_lo
	s_delay_alu instid0(VALU_DEP_1) | instskip(NEXT) | instid1(VALU_DEP_1)
	v_lshrrev_b16 v3, 1, v1
	v_and_b32_e32 v3, 0x7f, v3
	s_delay_alu instid0(VALU_DEP_1) | instskip(NEXT) | instid1(VALU_DEP_1)
	v_mul_lo_u16 v3, 0xb3, v3
	v_lshrrev_b16 v3, 12, v3
	s_delay_alu instid0(VALU_DEP_1) | instskip(SKIP_1) | instid1(VALU_DEP_2)
	v_mul_lo_u16 v4, v3, 46
	v_and_b32_e32 v3, 0xffff, v3
	v_sub_nc_u16 v1, v1, v4
	s_delay_alu instid0(VALU_DEP_2) | instskip(NEXT) | instid1(VALU_DEP_2)
	v_add_nc_u32_e32 v2, v2, v3
	v_and_b32_e32 v1, 0xff, v1
	s_delay_alu instid0(VALU_DEP_2)
	v_cmpx_gt_u32_e32 0x80, v2
	s_cbranch_execz .LBB9_30
; %bb.29:
	s_delay_alu instid0(VALU_DEP_2) | instskip(SKIP_1) | instid1(VALU_DEP_2)
	v_mad_co_u64_u32 v[3:4], null, v2, s6, v[1:2]
	v_lshlrev_b32_e32 v5, 2, v1
	v_ashrrev_i32_e32 v4, 31, v3
	s_delay_alu instid0(VALU_DEP_1) | instskip(NEXT) | instid1(VALU_DEP_1)
	v_lshlrev_b64_e32 v[3:4], 2, v[3:4]
	v_add_co_u32 v3, vcc_lo, s4, v3
	s_wait_alu 0xfffd
	s_delay_alu instid0(VALU_DEP_2) | instskip(SKIP_2) | instid1(VALU_DEP_1)
	v_add_co_ci_u32_e64 v4, null, s5, v4, vcc_lo
	global_load_b32 v3, v[3:4], off
	v_mul_lo_u32 v4, 0xb8, v2
	v_add3_u32 v4, 0, v4, v5
	s_wait_loadcnt 0x0
	ds_store_b32 v4, v3
.LBB9_30:
	s_or_b32 exec_lo, exec_lo, s9
	v_cmp_gt_u32_e32 vcc_lo, 0x280, v0
	s_and_b32 exec_lo, exec_lo, vcc_lo
	;; [unrolled: 40-line block ×6, first 2 shown]
	s_cbranch_execz .LBB9_45
; %bb.43:
	v_or_b32_e32 v3, 0x80, v1
	s_delay_alu instid0(VALU_DEP_1) | instskip(NEXT) | instid1(VALU_DEP_1)
	v_lshrrev_b16 v1, 1, v3
	v_mul_lo_u16 v1, 0xb3, v1
	s_delay_alu instid0(VALU_DEP_1) | instskip(NEXT) | instid1(VALU_DEP_1)
	v_lshrrev_b16 v4, 12, v1
	v_and_b32_e32 v1, 0xffff, v4
	s_delay_alu instid0(VALU_DEP_1) | instskip(NEXT) | instid1(VALU_DEP_1)
	v_add_nc_u32_e32 v1, v2, v1
	v_cmp_gt_u32_e32 vcc_lo, 0x80, v1
	s_and_b32 exec_lo, exec_lo, vcc_lo
	s_cbranch_execz .LBB9_45
; %bb.44:
	v_mul_lo_u16 v2, v4, 46
	s_delay_alu instid0(VALU_DEP_1) | instskip(NEXT) | instid1(VALU_DEP_1)
	v_sub_nc_u16 v2, v3, v2
	v_and_b32_e32 v2, 0xff, v2
	s_delay_alu instid0(VALU_DEP_1) | instskip(SKIP_2) | instid1(VALU_DEP_3)
	v_mad_co_u64_u32 v[3:4], null, v1, s6, v[2:3]
	v_mul_lo_u32 v1, 0xb8, v1
	v_lshlrev_b32_e32 v2, 2, v2
	v_ashrrev_i32_e32 v4, 31, v3
	s_delay_alu instid0(VALU_DEP_2) | instskip(NEXT) | instid1(VALU_DEP_2)
	v_add3_u32 v1, 0, v1, v2
	v_lshlrev_b64_e32 v[3:4], 2, v[3:4]
	s_delay_alu instid0(VALU_DEP_1) | instskip(SKIP_1) | instid1(VALU_DEP_2)
	v_add_co_u32 v3, vcc_lo, s4, v3
	s_wait_alu 0xfffd
	v_add_co_ci_u32_e64 v4, null, s5, v4, vcc_lo
	global_load_b32 v3, v[3:4], off
	s_wait_loadcnt 0x0
	ds_store_b32 v1, v3
.LBB9_45:
	s_or_b32 exec_lo, exec_lo, s8
	s_clause 0x1
	s_load_b128 s[8:11], s[0:1], 0x8
	s_load_b64 s[4:5], s[0:1], 0x28
	s_ashr_i32 s6, s7, 2
	s_ashr_i32 s15, s7, 31
	s_wait_alu 0xfffe
	v_mul_lo_u32 v1, s6, v0
	s_mov_b32 s14, s7
	s_wait_dscnt 0x0
	s_mul_u64 s[6:7], s[2:3], s[14:15]
	s_barrier_signal -1
	s_barrier_wait -1
	global_inv scope:SCOPE_SE
	v_lshlrev_b32_e32 v17, 2, v0
	v_ashrrev_i32_e32 v2, 31, v1
	s_delay_alu instid0(VALU_DEP_1)
	v_lshlrev_b64_e32 v[1:2], 2, v[1:2]
	s_wait_kmcnt 0x0
	s_wait_alu 0xfffe
	s_add_nc_u64 s[6:7], s[8:9], s[6:7]
	s_cmp_eq_u64 s[10:11], 0
	s_wait_alu 0xfffe
	v_add_co_u32 v9, vcc_lo, s6, v1
	s_wait_alu 0xfffd
	v_add_co_ci_u32_e64 v10, null, s7, v2, vcc_lo
	s_clause 0x3
	global_load_b96 v[13:15], v[9:10], off offset:48
	global_load_b128 v[1:4], v[9:10], off offset:32
	global_load_b128 v[5:8], v[9:10], off offset:16
	global_load_b128 v[9:12], v[9:10], off
	s_cbranch_scc1 .LBB9_47
; %bb.46:
	s_lshl_b32 s6, s2, 2
	s_mov_b32 s7, 0
	s_wait_alu 0xfffe
	s_add_nc_u64 s[6:7], s[10:11], s[6:7]
	global_load_b32 v20, v17, s[6:7]
	s_branch .LBB9_48
.LBB9_47:
	v_mov_b32_e32 v20, 0
.LBB9_48:
	s_load_b64 s[6:7], s[0:1], 0x40
	s_wait_kmcnt 0x0
	s_sub_nc_u64 s[6:7], s[6:7], s[12:13]
	s_wait_alu 0xfffe
	v_cmp_lt_i64_e64 s8, s[6:7], 1
	s_and_b32 vcc_lo, exec_lo, s8
	s_wait_alu 0xfffe
	s_cbranch_vccnz .LBB9_51
; %bb.49:
	s_load_b96 s[8:10], s[0:1], 0x30
	v_mad_u32_u24 v0, 0xb8, v0, 0
	v_cmp_lt_u64_e64 s16, s[6:7], 32
	ds_load_b32 v16, v0
	s_wait_kmcnt 0x0
	s_mul_i32 s0, s10, ttmp9
	s_ashr_i32 s11, s9, 31
	s_mov_b32 s10, s9
	s_ashr_i32 s15, s8, 31
	s_mov_b32 s14, s8
	s_mul_u64 s[10:11], s[12:13], s[10:11]
	s_mul_u64 s[2:3], s[2:3], s[14:15]
	s_ashr_i32 s1, s0, 31
	s_add_nc_u64 s[2:3], s[2:3], s[10:11]
	s_add_nc_u64 s[0:1], s[4:5], s[0:1]
	s_ashr_i32 s8, s9, 2
	s_add_nc_u64 s[0:1], s[0:1], s[2:3]
	s_ashr_i32 s9, s8, 31
	v_add_co_u32 v18, s0, s0, v17
	s_wait_alu 0xf1ff
	v_add_co_ci_u32_e64 v19, null, s1, 0, s0
	s_and_b32 s4, s16, exec_lo
	s_cselect_b32 s1, s7, 0
	s_cselect_b32 s0, s6, 32
	s_lshl_b64 s[2:3], s[8:9], 2
.LBB9_50:                               ; =>This Inner Loop Header: Depth=1
	s_wait_loadcnt_dscnt 0x0
	v_fma_f32 v33, v9, v16, 0
	ds_load_2addr_b32 v[16:17], v0 offset0:1 offset1:2
	ds_load_2addr_b32 v[21:22], v0 offset0:3 offset1:4
	ds_load_2addr_b32 v[23:24], v0 offset0:5 offset1:6
	ds_load_2addr_b32 v[25:26], v0 offset0:7 offset1:8
	ds_load_2addr_b32 v[27:28], v0 offset0:9 offset1:10
	ds_load_2addr_b32 v[29:30], v0 offset0:11 offset1:12
	ds_load_2addr_b32 v[31:32], v0 offset0:13 offset1:14
	s_wait_alu 0xfffe
	s_add_nc_u64 s[0:1], s[0:1], -1
	v_add_nc_u32_e32 v0, 4, v0
	s_wait_alu 0xfffe
	s_cmp_lg_u64 s[0:1], 0
	s_wait_dscnt 0x6
	v_fmac_f32_e32 v33, v10, v16
	s_delay_alu instid0(VALU_DEP_1) | instskip(SKIP_1) | instid1(VALU_DEP_1)
	v_fmac_f32_e32 v33, v11, v17
	s_wait_dscnt 0x5
	v_fmac_f32_e32 v33, v12, v21
	s_delay_alu instid0(VALU_DEP_1) | instskip(SKIP_1) | instid1(VALU_DEP_1)
	v_fmac_f32_e32 v33, v5, v22
	;; [unrolled: 4-line block ×6, first 2 shown]
	s_wait_dscnt 0x0
	v_fmac_f32_e32 v33, v14, v31
	s_delay_alu instid0(VALU_DEP_1) | instskip(NEXT) | instid1(VALU_DEP_1)
	v_fmac_f32_e32 v33, v15, v32
	v_add_f32_e32 v17, v20, v33
	s_delay_alu instid0(VALU_DEP_1) | instskip(SKIP_1) | instid1(VALU_DEP_2)
	v_mul_f32_e32 v21, 0xbfb8aa3b, v17
	v_cmp_nlt_f32_e32 vcc_lo, 0x42ce8ed0, v17
	v_fma_f32 v22, 0xbfb8aa3b, v17, -v21
	v_rndne_f32_e32 v23, v21
	s_delay_alu instid0(VALU_DEP_1) | instskip(NEXT) | instid1(VALU_DEP_1)
	v_dual_fmac_f32 v22, 0xb2a5705f, v17 :: v_dual_sub_f32 v21, v21, v23
	v_add_f32_e32 v21, v21, v22
	v_cvt_i32_f32_e32 v22, v23
	s_delay_alu instid0(VALU_DEP_2) | instskip(NEXT) | instid1(TRANS32_DEP_1)
	v_exp_f32_e32 v21, v21
	v_ldexp_f32 v21, v21, v22
	s_wait_alu 0xfffd
	s_delay_alu instid0(VALU_DEP_1) | instskip(SKIP_2) | instid1(VALU_DEP_2)
	v_cndmask_b32_e32 v21, 0, v21, vcc_lo
	v_cmp_ngt_f32_e32 vcc_lo, 0xc2b17218, v17
	s_wait_alu 0xfffd
	v_cndmask_b32_e32 v21, 0x7f800000, v21, vcc_lo
	s_delay_alu instid0(VALU_DEP_1) | instskip(NEXT) | instid1(VALU_DEP_1)
	v_add_f32_e32 v21, 1.0, v21
	v_div_scale_f32 v22, null, v21, v21, v17
	v_div_scale_f32 v24, vcc_lo, v17, v21, v17
	s_delay_alu instid0(VALU_DEP_2) | instskip(NEXT) | instid1(TRANS32_DEP_1)
	v_rcp_f32_e32 v23, v22
	v_fma_f32 v25, -v22, v23, 1.0
	s_delay_alu instid0(VALU_DEP_1) | instskip(NEXT) | instid1(VALU_DEP_1)
	v_fmac_f32_e32 v23, v25, v23
	v_mul_f32_e32 v25, v24, v23
	s_delay_alu instid0(VALU_DEP_1) | instskip(NEXT) | instid1(VALU_DEP_1)
	v_fma_f32 v26, -v22, v25, v24
	v_fmac_f32_e32 v25, v26, v23
	s_delay_alu instid0(VALU_DEP_1) | instskip(SKIP_1) | instid1(VALU_DEP_1)
	v_fma_f32 v22, -v22, v25, v24
	s_wait_alu 0xfffd
	v_div_fmas_f32 v22, v22, v23, v25
	s_delay_alu instid0(VALU_DEP_1)
	v_div_fixup_f32 v17, v22, v21, v17
	global_store_b32 v[18:19], v17, off
	v_add_co_u32 v18, vcc_lo, v18, s2
	s_wait_alu 0xfffd
	v_add_co_ci_u32_e64 v19, null, s3, v19, vcc_lo
	s_cbranch_scc1 .LBB9_50
.LBB9_51:
	s_endpgm
	.section	.rodata,"a",@progbits
	.p2align	6, 0x0
	.amdhsa_kernel _ZL23ssm_conv_long_token_f32ILb1ELm128ELm15ELl32EEvPKfS1_S1_iiiiPfiiil
		.amdhsa_group_segment_fixed_size 0
		.amdhsa_private_segment_fixed_size 0
		.amdhsa_kernarg_size 72
		.amdhsa_user_sgpr_count 2
		.amdhsa_user_sgpr_dispatch_ptr 0
		.amdhsa_user_sgpr_queue_ptr 0
		.amdhsa_user_sgpr_kernarg_segment_ptr 1
		.amdhsa_user_sgpr_dispatch_id 0
		.amdhsa_user_sgpr_private_segment_size 0
		.amdhsa_wavefront_size32 1
		.amdhsa_uses_dynamic_stack 0
		.amdhsa_enable_private_segment 0
		.amdhsa_system_sgpr_workgroup_id_x 1
		.amdhsa_system_sgpr_workgroup_id_y 1
		.amdhsa_system_sgpr_workgroup_id_z 1
		.amdhsa_system_sgpr_workgroup_info 0
		.amdhsa_system_vgpr_workitem_id 0
		.amdhsa_next_free_vgpr 90
		.amdhsa_next_free_sgpr 18
		.amdhsa_reserve_vcc 1
		.amdhsa_float_round_mode_32 0
		.amdhsa_float_round_mode_16_64 0
		.amdhsa_float_denorm_mode_32 3
		.amdhsa_float_denorm_mode_16_64 3
		.amdhsa_fp16_overflow 0
		.amdhsa_workgroup_processor_mode 1
		.amdhsa_memory_ordered 1
		.amdhsa_forward_progress 1
		.amdhsa_inst_pref_size 78
		.amdhsa_round_robin_scheduling 0
		.amdhsa_exception_fp_ieee_invalid_op 0
		.amdhsa_exception_fp_denorm_src 0
		.amdhsa_exception_fp_ieee_div_zero 0
		.amdhsa_exception_fp_ieee_overflow 0
		.amdhsa_exception_fp_ieee_underflow 0
		.amdhsa_exception_fp_ieee_inexact 0
		.amdhsa_exception_int_div_zero 0
	.end_amdhsa_kernel
	.section	.text._ZL23ssm_conv_long_token_f32ILb1ELm128ELm15ELl32EEvPKfS1_S1_iiiiPfiiil,"axG",@progbits,_ZL23ssm_conv_long_token_f32ILb1ELm128ELm15ELl32EEvPKfS1_S1_iiiiPfiiil,comdat
.Lfunc_end9:
	.size	_ZL23ssm_conv_long_token_f32ILb1ELm128ELm15ELl32EEvPKfS1_S1_iiiiPfiiil, .Lfunc_end9-_ZL23ssm_conv_long_token_f32ILb1ELm128ELm15ELl32EEvPKfS1_S1_iiiiPfiiil
                                        ; -- End function
	.set _ZL23ssm_conv_long_token_f32ILb1ELm128ELm15ELl32EEvPKfS1_S1_iiiiPfiiil.num_vgpr, 90
	.set _ZL23ssm_conv_long_token_f32ILb1ELm128ELm15ELl32EEvPKfS1_S1_iiiiPfiiil.num_agpr, 0
	.set _ZL23ssm_conv_long_token_f32ILb1ELm128ELm15ELl32EEvPKfS1_S1_iiiiPfiiil.numbered_sgpr, 18
	.set _ZL23ssm_conv_long_token_f32ILb1ELm128ELm15ELl32EEvPKfS1_S1_iiiiPfiiil.num_named_barrier, 0
	.set _ZL23ssm_conv_long_token_f32ILb1ELm128ELm15ELl32EEvPKfS1_S1_iiiiPfiiil.private_seg_size, 0
	.set _ZL23ssm_conv_long_token_f32ILb1ELm128ELm15ELl32EEvPKfS1_S1_iiiiPfiiil.uses_vcc, 1
	.set _ZL23ssm_conv_long_token_f32ILb1ELm128ELm15ELl32EEvPKfS1_S1_iiiiPfiiil.uses_flat_scratch, 0
	.set _ZL23ssm_conv_long_token_f32ILb1ELm128ELm15ELl32EEvPKfS1_S1_iiiiPfiiil.has_dyn_sized_stack, 0
	.set _ZL23ssm_conv_long_token_f32ILb1ELm128ELm15ELl32EEvPKfS1_S1_iiiiPfiiil.has_recursion, 0
	.set _ZL23ssm_conv_long_token_f32ILb1ELm128ELm15ELl32EEvPKfS1_S1_iiiiPfiiil.has_indirect_call, 0
	.section	.AMDGPU.csdata,"",@progbits
; Kernel info:
; codeLenInByte = 9940
; TotalNumSgprs: 20
; NumVgprs: 90
; ScratchSize: 0
; MemoryBound: 0
; FloatMode: 240
; IeeeMode: 1
; LDSByteSize: 0 bytes/workgroup (compile time only)
; SGPRBlocks: 0
; VGPRBlocks: 11
; NumSGPRsForWavesPerEU: 20
; NumVGPRsForWavesPerEU: 90
; Occupancy: 16
; WaveLimiterHint : 0
; COMPUTE_PGM_RSRC2:SCRATCH_EN: 0
; COMPUTE_PGM_RSRC2:USER_SGPR: 2
; COMPUTE_PGM_RSRC2:TRAP_HANDLER: 0
; COMPUTE_PGM_RSRC2:TGID_X_EN: 1
; COMPUTE_PGM_RSRC2:TGID_Y_EN: 1
; COMPUTE_PGM_RSRC2:TGID_Z_EN: 1
; COMPUTE_PGM_RSRC2:TIDIG_COMP_CNT: 0
	.section	.text._ZL12ssm_conv_f32ILb0ELm128ELm3EEvPKfS1_S1_iiiiPfiiil,"axG",@progbits,_ZL12ssm_conv_f32ILb0ELm128ELm3EEvPKfS1_S1_iiiiPfiiil,comdat
	.globl	_ZL12ssm_conv_f32ILb0ELm128ELm3EEvPKfS1_S1_iiiiPfiiil ; -- Begin function _ZL12ssm_conv_f32ILb0ELm128ELm3EEvPKfS1_S1_iiiiPfiiil
	.p2align	8
	.type	_ZL12ssm_conv_f32ILb0ELm128ELm3EEvPKfS1_S1_iiiiPfiiil,@function
_ZL12ssm_conv_f32ILb0ELm128ELm3EEvPKfS1_S1_iiiiPfiiil: ; @_ZL12ssm_conv_f32ILb0ELm128ELm3EEvPKfS1_S1_iiiiPfiiil
; %bb.0:
	s_load_b64 s[4:5], s[0:1], 0x10
	s_mov_b32 s2, ttmp7
	s_ashr_i32 s3, ttmp7, 31
	v_lshlrev_b32_e32 v8, 2, v0
	s_lshl_b64 s[2:3], s[2:3], 7
	s_wait_kmcnt 0x0
	s_cmp_eq_u64 s[4:5], 0
	s_cbranch_scc1 .LBB10_2
; %bb.1:
	s_lshl_b64 s[6:7], s[2:3], 2
	s_delay_alu instid0(SALU_CYCLE_1)
	s_add_nc_u64 s[4:5], s[4:5], s[6:7]
	global_load_b32 v10, v8, s[4:5]
	s_load_b64 s[12:13], s[0:1], 0x40
	s_wait_kmcnt 0x0
	v_cmp_lt_i64_e64 s4, s[12:13], 1
	s_and_b32 vcc_lo, exec_lo, s4
	s_cbranch_vccz .LBB10_3
	s_branch .LBB10_6
.LBB10_2:
	v_mov_b32_e32 v10, 0
	s_load_b64 s[12:13], s[0:1], 0x40
	s_wait_kmcnt 0x0
	v_cmp_lt_i64_e64 s4, s[12:13], 1
	s_and_b32 vcc_lo, exec_lo, s4
	s_cbranch_vccnz .LBB10_6
.LBB10_3:
	s_clause 0x1
	s_load_b96 s[8:10], s[0:1], 0x1c
	s_load_b128 s[4:7], s[0:1], 0x0
	s_wait_kmcnt 0x0
	s_ashr_i32 s11, s10, 2
	s_ashr_i32 s14, s8, 2
	v_mul_lo_u32 v1, s11, v0
	v_mul_lo_u32 v3, s14, v0
	s_ashr_i32 s11, s10, 31
	s_mul_i32 s14, s9, ttmp9
	s_ashr_i32 s9, s8, 31
	s_wait_alu 0xfffe
	s_mul_u64 s[10:11], s[2:3], s[10:11]
	s_ashr_i32 s15, s14, 31
	s_mul_u64 s[8:9], s[2:3], s[8:9]
	v_ashrrev_i32_e32 v2, 31, v1
	v_ashrrev_i32_e32 v4, 31, v3
	s_wait_alu 0xfffe
	s_add_nc_u64 s[4:5], s[4:5], s[14:15]
	s_add_nc_u64 s[6:7], s[6:7], s[10:11]
	s_add_nc_u64 s[4:5], s[4:5], s[8:9]
	v_lshlrev_b64_e32 v[0:1], 2, v[1:2]
	v_lshlrev_b64_e32 v[2:3], 2, v[3:4]
	s_delay_alu instid0(VALU_DEP_2) | instskip(NEXT) | instid1(VALU_DEP_1)
	v_add_co_u32 v0, vcc_lo, s6, v0
	v_add_co_ci_u32_e64 v1, null, s7, v1, vcc_lo
	s_delay_alu instid0(VALU_DEP_3) | instskip(SKIP_1) | instid1(VALU_DEP_4)
	v_add_co_u32 v6, vcc_lo, s4, v2
	s_wait_alu 0xfffd
	v_add_co_ci_u32_e64 v7, null, s5, v3, vcc_lo
	global_load_b96 v[0:2], v[0:1], off
	global_load_b96 v[3:5], v[6:7], off
	s_clause 0x1
	s_load_b96 s[4:6], s[0:1], 0x30
	s_load_b64 s[0:1], s[0:1], 0x28
	s_wait_kmcnt 0x0
	s_mul_i32 s6, s6, ttmp9
	s_ashr_i32 s9, s4, 31
	s_wait_alu 0xfffe
	s_ashr_i32 s7, s6, 31
	s_mov_b32 s8, s4
	s_wait_alu 0xfffe
	s_add_nc_u64 s[0:1], s[0:1], s[6:7]
	s_mul_u64 s[6:7], s[2:3], s[8:9]
	s_cmp_eq_u64 s[12:13], 1
	s_wait_alu 0xfffe
	s_add_nc_u64 s[2:3], s[0:1], s[6:7]
	s_wait_loadcnt 0x0
	v_fma_f32 v9, v0, v3, 0
	s_delay_alu instid0(VALU_DEP_1) | instskip(NEXT) | instid1(VALU_DEP_1)
	v_fmac_f32_e32 v9, v1, v4
	v_fmac_f32_e32 v9, v2, v5
	s_delay_alu instid0(VALU_DEP_1)
	v_add_f32_e32 v9, v10, v9
	global_store_b32 v8, v9, s[2:3]
	s_cbranch_scc1 .LBB10_6
; %bb.4:
	s_ashr_i32 s2, s5, 2
	v_add_co_u32 v6, vcc_lo, v6, 12
	s_ashr_i32 s3, s2, 31
	s_wait_alu 0xfffd
	v_add_co_ci_u32_e64 v7, null, 0, v7, vcc_lo
	s_lshl_b64 s[2:3], s[2:3], 2
	s_add_nc_u64 s[4:5], s[12:13], -1
	s_add_nc_u64 s[6:7], s[6:7], s[2:3]
	s_mov_b64 s[8:9], 0xaaaaaaab
	s_wait_alu 0xfffe
	s_add_nc_u64 s[0:1], s[0:1], s[6:7]
	s_mov_b64 s[6:7], 1
	v_add_co_u32 v8, s0, s0, v8
	s_wait_alu 0xf1ff
	v_add_co_ci_u32_e64 v9, null, s1, 0, s0
	s_mov_b64 s[10:11], 0xaaaaaaaa
	s_mov_b64 s[12:13], 3
	;; [unrolled: 1-line block ×4, first 2 shown]
	s_mov_b32 s19, 0
.LBB10_5:                               ; =>This Inner Loop Header: Depth=1
	global_load_b32 v11, v[6:7], off
	s_wait_alu 0xfffe
	s_mov_b32 s18, s7
	s_mov_b32 s0, s6
	;; [unrolled: 1-line block ×7, first 2 shown]
	s_mul_u64 s[52:53], s[18:19], s[8:9]
	s_wait_alu 0xfffe
	s_mul_u64 s[54:55], s[0:1], s[8:9]
	s_mul_u64 s[56:57], s[18:19], s[10:11]
	s_mov_b32 s18, s13
	s_mul_u64 s[58:59], s[26:27], s[8:9]
	s_mov_b32 s21, s19
	s_mov_b32 s29, s19
	;; [unrolled: 1-line block ×4, first 2 shown]
	s_mul_u64 s[60:61], s[36:37], s[8:9]
	s_mul_u64 s[64:65], s[18:19], s[8:9]
	;; [unrolled: 1-line block ×3, first 2 shown]
	s_mov_b32 s18, s15
	s_mov_b32 s20, s55
	;; [unrolled: 1-line block ×4, first 2 shown]
	s_mul_u64 s[62:63], s[44:45], s[8:9]
	s_mul_u64 s[68:69], s[18:19], s[8:9]
	;; [unrolled: 1-line block ×3, first 2 shown]
	s_mov_b32 s18, s17
	s_mov_b32 s38, s61
	s_add_nc_u64 s[20:21], s[52:53], s[20:21]
	s_add_nc_u64 s[28:29], s[64:65], s[28:29]
	s_mov_b32 s47, s19
	s_mul_u64 s[0:1], s[0:1], s[10:11]
	s_mul_u64 s[26:27], s[26:27], s[10:11]
	s_mov_b32 s46, s63
	s_mul_u64 s[54:55], s[18:19], s[8:9]
	s_mov_b32 s22, s21
	s_mov_b32 s21, s19
	;; [unrolled: 1-line block ×4, first 2 shown]
	s_add_nc_u64 s[38:39], s[68:69], s[38:39]
	s_mul_u64 s[36:37], s[36:37], s[10:11]
	s_wait_alu 0xfffe
	s_add_nc_u64 s[0:1], s[0:1], s[20:21]
	s_add_nc_u64 s[20:21], s[26:27], s[28:29]
	s_mov_b32 s40, s39
	s_mov_b32 s39, s19
	s_add_nc_u64 s[26:27], s[54:55], s[46:47]
	s_mov_b32 s23, s19
	s_mov_b32 s25, s19
	;; [unrolled: 1-line block ×4, first 2 shown]
	s_mul_u64 s[44:45], s[44:45], s[10:11]
	s_wait_alu 0xfffe
	s_mov_b32 s24, s1
	s_mov_b32 s34, s21
	s_add_nc_u64 s[0:1], s[36:37], s[38:39]
	s_mov_b32 s48, s27
	s_mov_b32 s27, s19
	;; [unrolled: 1-line block ×4, first 2 shown]
	s_add_nc_u64 s[20:21], s[22:23], s[24:25]
	s_add_nc_u64 s[22:23], s[30:31], s[34:35]
	s_wait_alu 0xfffe
	s_mov_b32 s42, s1
	s_add_nc_u64 s[0:1], s[44:45], s[26:27]
	s_mov_b32 s49, s19
	s_mov_b32 s51, s19
	s_add_nc_u64 s[20:21], s[56:57], s[20:21]
	s_add_nc_u64 s[22:23], s[66:67], s[22:23]
	;; [unrolled: 1-line block ×3, first 2 shown]
	s_wait_alu 0xfffe
	s_mov_b32 s50, s1
	s_mul_u64 s[58:59], s[18:19], s[10:11]
	s_lshr_b64 s[0:1], s[20:21], 1
	s_lshr_b64 s[20:21], s[22:23], 1
	s_add_nc_u64 s[22:23], s[70:71], s[24:25]
	s_add_nc_u64 s[24:25], s[48:49], s[50:51]
	s_wait_alu 0xfffe
	s_mul_i32 s18, s0, 3
	s_mul_i32 s26, s20, 3
	s_lshr_b64 s[0:1], s[22:23], 1
	s_add_nc_u64 s[20:21], s[58:59], s[24:25]
	s_wait_alu 0xfffe
	s_mul_i32 s23, s0, 3
	s_lshr_b64 s[0:1], s[20:21], 1
	s_sub_co_i32 s18, s6, s18
	s_wait_alu 0xfffe
	s_mul_i32 s0, s0, 3
	s_sub_co_i32 s22, s12, s26
	s_wait_alu 0xfffe
	s_sub_co_i32 s1, s16, s0
	s_sub_co_i32 s20, s14, s23
	v_add_co_u32 v6, vcc_lo, v6, 4
	s_wait_alu 0xfffe
	s_cmp_eq_u32 s1, 2
	s_wait_alu 0xfffd
	v_add_co_ci_u32_e64 v7, null, 0, v7, vcc_lo
	s_cselect_b32 vcc_lo, -1, 0
	s_cmp_eq_u32 s1, 1
	s_add_nc_u64 s[4:5], s[4:5], -1
	s_cselect_b32 s0, -1, 0
	s_cmp_eq_u32 s1, 0
	s_add_nc_u64 s[6:7], s[6:7], 1
	s_cselect_b32 s1, -1, 0
	s_cmp_eq_u32 s18, 1
	s_add_nc_u64 s[12:13], s[12:13], 1
	s_add_nc_u64 s[14:15], s[14:15], 1
	;; [unrolled: 1-line block ×3, first 2 shown]
	s_wait_loadcnt 0x0
	s_wait_alu 0xfffe
	v_cndmask_b32_e64 v4, v4, v11, s0
	v_cndmask_b32_e64 v3, v3, v11, s1
	v_cndmask_b32_e32 v5, v5, v11, vcc_lo
	s_cselect_b32 vcc_lo, -1, 0
	s_cmp_eq_u32 s18, 2
	s_wait_alu 0xfffe
	v_cndmask_b32_e32 v11, v3, v4, vcc_lo
	s_cselect_b32 vcc_lo, -1, 0
	s_cmp_eq_u32 s20, 1
	s_cselect_b32 s0, -1, 0
	s_cmp_eq_u32 s20, 2
	s_wait_alu 0xfffe
	v_cndmask_b32_e64 v12, v3, v4, s0
	v_cndmask_b32_e32 v11, v11, v5, vcc_lo
	s_cselect_b32 s0, -1, 0
	s_cmp_eq_u32 s22, 1
	s_cselect_b32 vcc_lo, -1, 0
	s_wait_alu 0xfffe
	v_cndmask_b32_e64 v12, v12, v5, s0
	v_cndmask_b32_e32 v13, v3, v4, vcc_lo
	v_fma_f32 v11, v0, v11, 0
	s_cmp_eq_u32 s22, 2
	s_cselect_b32 vcc_lo, -1, 0
	s_cmp_eq_u64 s[4:5], 0
	s_wait_alu 0xfffe
	v_cndmask_b32_e32 v13, v13, v5, vcc_lo
	v_fmac_f32_e32 v11, v1, v12
	s_delay_alu instid0(VALU_DEP_1) | instskip(NEXT) | instid1(VALU_DEP_1)
	v_fmac_f32_e32 v11, v2, v13
	v_add_f32_e32 v11, v10, v11
	global_store_b32 v[8:9], v11, off
	v_add_co_u32 v8, vcc_lo, v8, s2
	s_wait_alu 0xfffd
	v_add_co_ci_u32_e64 v9, null, s3, v9, vcc_lo
	s_cbranch_scc0 .LBB10_5
.LBB10_6:
	s_endpgm
	.section	.rodata,"a",@progbits
	.p2align	6, 0x0
	.amdhsa_kernel _ZL12ssm_conv_f32ILb0ELm128ELm3EEvPKfS1_S1_iiiiPfiiil
		.amdhsa_group_segment_fixed_size 0
		.amdhsa_private_segment_fixed_size 0
		.amdhsa_kernarg_size 72
		.amdhsa_user_sgpr_count 2
		.amdhsa_user_sgpr_dispatch_ptr 0
		.amdhsa_user_sgpr_queue_ptr 0
		.amdhsa_user_sgpr_kernarg_segment_ptr 1
		.amdhsa_user_sgpr_dispatch_id 0
		.amdhsa_user_sgpr_private_segment_size 0
		.amdhsa_wavefront_size32 1
		.amdhsa_uses_dynamic_stack 0
		.amdhsa_enable_private_segment 0
		.amdhsa_system_sgpr_workgroup_id_x 1
		.amdhsa_system_sgpr_workgroup_id_y 1
		.amdhsa_system_sgpr_workgroup_id_z 0
		.amdhsa_system_sgpr_workgroup_info 0
		.amdhsa_system_vgpr_workitem_id 0
		.amdhsa_next_free_vgpr 14
		.amdhsa_next_free_sgpr 72
		.amdhsa_reserve_vcc 1
		.amdhsa_float_round_mode_32 0
		.amdhsa_float_round_mode_16_64 0
		.amdhsa_float_denorm_mode_32 3
		.amdhsa_float_denorm_mode_16_64 3
		.amdhsa_fp16_overflow 0
		.amdhsa_workgroup_processor_mode 1
		.amdhsa_memory_ordered 1
		.amdhsa_forward_progress 1
		.amdhsa_inst_pref_size 10
		.amdhsa_round_robin_scheduling 0
		.amdhsa_exception_fp_ieee_invalid_op 0
		.amdhsa_exception_fp_denorm_src 0
		.amdhsa_exception_fp_ieee_div_zero 0
		.amdhsa_exception_fp_ieee_overflow 0
		.amdhsa_exception_fp_ieee_underflow 0
		.amdhsa_exception_fp_ieee_inexact 0
		.amdhsa_exception_int_div_zero 0
	.end_amdhsa_kernel
	.section	.text._ZL12ssm_conv_f32ILb0ELm128ELm3EEvPKfS1_S1_iiiiPfiiil,"axG",@progbits,_ZL12ssm_conv_f32ILb0ELm128ELm3EEvPKfS1_S1_iiiiPfiiil,comdat
.Lfunc_end10:
	.size	_ZL12ssm_conv_f32ILb0ELm128ELm3EEvPKfS1_S1_iiiiPfiiil, .Lfunc_end10-_ZL12ssm_conv_f32ILb0ELm128ELm3EEvPKfS1_S1_iiiiPfiiil
                                        ; -- End function
	.set _ZL12ssm_conv_f32ILb0ELm128ELm3EEvPKfS1_S1_iiiiPfiiil.num_vgpr, 14
	.set _ZL12ssm_conv_f32ILb0ELm128ELm3EEvPKfS1_S1_iiiiPfiiil.num_agpr, 0
	.set _ZL12ssm_conv_f32ILb0ELm128ELm3EEvPKfS1_S1_iiiiPfiiil.numbered_sgpr, 72
	.set _ZL12ssm_conv_f32ILb0ELm128ELm3EEvPKfS1_S1_iiiiPfiiil.num_named_barrier, 0
	.set _ZL12ssm_conv_f32ILb0ELm128ELm3EEvPKfS1_S1_iiiiPfiiil.private_seg_size, 0
	.set _ZL12ssm_conv_f32ILb0ELm128ELm3EEvPKfS1_S1_iiiiPfiiil.uses_vcc, 1
	.set _ZL12ssm_conv_f32ILb0ELm128ELm3EEvPKfS1_S1_iiiiPfiiil.uses_flat_scratch, 0
	.set _ZL12ssm_conv_f32ILb0ELm128ELm3EEvPKfS1_S1_iiiiPfiiil.has_dyn_sized_stack, 0
	.set _ZL12ssm_conv_f32ILb0ELm128ELm3EEvPKfS1_S1_iiiiPfiiil.has_recursion, 0
	.set _ZL12ssm_conv_f32ILb0ELm128ELm3EEvPKfS1_S1_iiiiPfiiil.has_indirect_call, 0
	.section	.AMDGPU.csdata,"",@progbits
; Kernel info:
; codeLenInByte = 1168
; TotalNumSgprs: 74
; NumVgprs: 14
; ScratchSize: 0
; MemoryBound: 0
; FloatMode: 240
; IeeeMode: 1
; LDSByteSize: 0 bytes/workgroup (compile time only)
; SGPRBlocks: 0
; VGPRBlocks: 1
; NumSGPRsForWavesPerEU: 74
; NumVGPRsForWavesPerEU: 14
; Occupancy: 16
; WaveLimiterHint : 0
; COMPUTE_PGM_RSRC2:SCRATCH_EN: 0
; COMPUTE_PGM_RSRC2:USER_SGPR: 2
; COMPUTE_PGM_RSRC2:TRAP_HANDLER: 0
; COMPUTE_PGM_RSRC2:TGID_X_EN: 1
; COMPUTE_PGM_RSRC2:TGID_Y_EN: 1
; COMPUTE_PGM_RSRC2:TGID_Z_EN: 0
; COMPUTE_PGM_RSRC2:TIDIG_COMP_CNT: 0
	.section	.text._ZL23ssm_conv_long_token_f32ILb0ELm128ELm3ELl32EEvPKfS1_S1_iiiiPfiiil,"axG",@progbits,_ZL23ssm_conv_long_token_f32ILb0ELm128ELm3ELl32EEvPKfS1_S1_iiiiPfiiil,comdat
	.globl	_ZL23ssm_conv_long_token_f32ILb0ELm128ELm3ELl32EEvPKfS1_S1_iiiiPfiiil ; -- Begin function _ZL23ssm_conv_long_token_f32ILb0ELm128ELm3ELl32EEvPKfS1_S1_iiiiPfiiil
	.p2align	8
	.type	_ZL23ssm_conv_long_token_f32ILb0ELm128ELm3ELl32EEvPKfS1_S1_iiiiPfiiil,@function
_ZL23ssm_conv_long_token_f32ILb0ELm128ELm3ELl32EEvPKfS1_S1_iiiiPfiiil: ; @_ZL23ssm_conv_long_token_f32ILb0ELm128ELm3ELl32EEvPKfS1_S1_iiiiPfiiil
; %bb.0:
	v_mul_u32_u24_e32 v1, 0x788, v0
	s_clause 0x1
	s_load_b128 s[4:7], s[0:1], 0x18
	s_load_b64 s[8:9], s[0:1], 0x0
	s_lshr_b32 s10, ttmp7, 11
	s_and_b32 s2, ttmp7, 0xffff
	v_lshrrev_b32_e32 v13, 16, v1
	s_and_b32 s12, s10, 0x1fffe0
	s_mov_b32 s3, 0
	s_lshl_b32 s2, s2, 7
	s_mov_b32 s13, s3
	v_mul_lo_u16 v1, v13, 34
	s_delay_alu instid0(VALU_DEP_1) | instskip(NEXT) | instid1(VALU_DEP_1)
	v_sub_nc_u16 v14, v0, v1
	v_or_b32_e32 v1, 0x80, v14
	s_wait_kmcnt 0x0
	s_mul_i32 s10, s6, ttmp9
	s_ashr_i32 s6, s5, 2
	v_and_b32_e32 v14, 0xffff, v14
	s_ashr_i32 s15, s5, 31
	v_mul_lo_u16 v2, 0xf1, v1
	s_mov_b32 s14, s5
	s_ashr_i32 s11, s10, 31
	s_ashr_i32 s17, s4, 31
	s_mov_b32 s16, s4
	v_lshrrev_b16 v15, 13, v2
	s_mul_u64 s[4:5], s[2:3], s[14:15]
	s_add_nc_u64 s[8:9], s[8:9], s[10:11]
	s_mul_u64 s[10:11], s[12:13], s[16:17]
	s_add_nc_u64 s[4:5], s[8:9], s[4:5]
	v_mul_lo_u16 v2, v15, 34
	v_and_b32_e32 v18, 0xffff, v15
	s_add_nc_u64 s[4:5], s[4:5], s[10:11]
	s_mov_b32 s8, exec_lo
	s_delay_alu instid0(VALU_DEP_2) | instskip(NEXT) | instid1(VALU_DEP_2)
	v_sub_nc_u16 v1, v1, v2
	v_add_nc_u32_e32 v43, v13, v18
	s_delay_alu instid0(VALU_DEP_2) | instskip(NEXT) | instid1(VALU_DEP_1)
	v_and_b32_e32 v1, 0xff, v1
	v_or_b32_e32 v2, 0x80, v1
	s_delay_alu instid0(VALU_DEP_1) | instskip(NEXT) | instid1(VALU_DEP_1)
	v_mul_lo_u16 v3, 0xf1, v2
	v_lshrrev_b16 v19, 13, v3
	s_delay_alu instid0(VALU_DEP_1) | instskip(NEXT) | instid1(VALU_DEP_1)
	v_mul_lo_u16 v3, v19, 34
	v_sub_nc_u16 v2, v2, v3
	s_delay_alu instid0(VALU_DEP_1) | instskip(NEXT) | instid1(VALU_DEP_1)
	v_and_b32_e32 v2, 0xff, v2
	v_or_b32_e32 v3, 0x80, v2
	s_delay_alu instid0(VALU_DEP_1) | instskip(NEXT) | instid1(VALU_DEP_1)
	v_mul_lo_u16 v4, 0xf1, v3
	v_lshrrev_b16 v22, 13, v4
	s_delay_alu instid0(VALU_DEP_1) | instskip(NEXT) | instid1(VALU_DEP_1)
	v_mul_lo_u16 v4, v22, 34
	v_sub_nc_u16 v3, v3, v4
	s_delay_alu instid0(VALU_DEP_1) | instskip(NEXT) | instid1(VALU_DEP_1)
	;; [unrolled: 9-line block ×6, first 2 shown]
	v_and_b32_e32 v7, 0xff, v7
	v_or_b32_e32 v8, 0x80, v7
	s_delay_alu instid0(VALU_DEP_1) | instskip(NEXT) | instid1(VALU_DEP_1)
	v_mul_lo_u16 v9, 0xf1, v8
	v_lshrrev_b16 v33, 13, v9
	s_delay_alu instid0(VALU_DEP_1) | instskip(SKIP_1) | instid1(VALU_DEP_2)
	v_mul_lo_u16 v9, v33, 34
	v_and_b32_e32 v36, 0xffff, v33
	v_sub_nc_u16 v8, v8, v9
	s_delay_alu instid0(VALU_DEP_1) | instskip(NEXT) | instid1(VALU_DEP_1)
	v_and_b32_e32 v8, 0xff, v8
	v_or_b32_e32 v9, 0x80, v8
	s_delay_alu instid0(VALU_DEP_1) | instskip(NEXT) | instid1(VALU_DEP_1)
	v_mul_lo_u16 v10, 0xf1, v9
	v_lshrrev_b16 v34, 13, v10
	s_delay_alu instid0(VALU_DEP_1) | instskip(SKIP_1) | instid1(VALU_DEP_2)
	v_mul_lo_u16 v10, v34, 34
	v_and_b32_e32 v34, 0xffff, v34
	v_sub_nc_u16 v9, v9, v10
	s_delay_alu instid0(VALU_DEP_1) | instskip(NEXT) | instid1(VALU_DEP_1)
	v_and_b32_e32 v9, 0xff, v9
	v_or_b32_e32 v10, 0x80, v9
	s_delay_alu instid0(VALU_DEP_1) | instskip(NEXT) | instid1(VALU_DEP_1)
	v_mul_lo_u16 v11, 0xf1, v10
	v_lshrrev_b16 v38, 13, v11
	s_delay_alu instid0(VALU_DEP_1) | instskip(NEXT) | instid1(VALU_DEP_1)
	v_mul_lo_u16 v11, v38, 34
	v_sub_nc_u16 v10, v10, v11
	s_delay_alu instid0(VALU_DEP_1) | instskip(NEXT) | instid1(VALU_DEP_1)
	v_and_b32_e32 v10, 0xff, v10
	v_or_b32_e32 v11, 0x80, v10
	s_delay_alu instid0(VALU_DEP_1) | instskip(NEXT) | instid1(VALU_DEP_1)
	v_mul_lo_u16 v12, 0xf1, v11
	v_lshrrev_b16 v40, 13, v12
	s_delay_alu instid0(VALU_DEP_1) | instskip(NEXT) | instid1(VALU_DEP_1)
	v_mul_lo_u16 v12, v40, 34
	;; [unrolled: 9-line block ×3, first 2 shown]
	v_sub_nc_u16 v12, v12, v16
	s_delay_alu instid0(VALU_DEP_1) | instskip(NEXT) | instid1(VALU_DEP_1)
	v_and_b32_e32 v12, 0xff, v12
	v_or_b32_e32 v17, 0x80, v12
	s_delay_alu instid0(VALU_DEP_1) | instskip(NEXT) | instid1(VALU_DEP_1)
	v_mul_lo_u16 v16, 0xf1, v17
	v_lshrrev_b16 v42, 13, v16
	v_mad_co_u64_u32 v[15:16], null, s6, v13, v[14:15]
	v_lshlrev_b32_e32 v14, 2, v14
	s_delay_alu instid0(VALU_DEP_3) | instskip(NEXT) | instid1(VALU_DEP_3)
	v_mul_lo_u16 v20, v42, 34
	v_ashrrev_i32_e32 v16, 31, v15
	s_delay_alu instid0(VALU_DEP_2) | instskip(SKIP_2) | instid1(VALU_DEP_4)
	v_sub_nc_u16 v20, v17, v20
	v_mad_co_u64_u32 v[17:18], null, v43, s6, v[1:2]
	v_and_b32_e32 v18, 0xffff, v19
	v_lshlrev_b64_e32 v[15:16], 2, v[15:16]
	s_delay_alu instid0(VALU_DEP_4) | instskip(SKIP_1) | instid1(VALU_DEP_4)
	v_and_b32_e32 v19, 0xff, v20
	v_lshlrev_b32_e32 v1, 2, v1
	v_add_nc_u32_e32 v44, v43, v18
	v_ashrrev_i32_e32 v18, 31, v17
	s_delay_alu instid0(VALU_DEP_4) | instskip(SKIP_1) | instid1(VALU_DEP_4)
	v_or_b32_e32 v25, 0x80, v19
	v_add_co_u32 v15, vcc_lo, s4, v15
	v_mad_co_u64_u32 v[20:21], null, v44, s6, v[2:3]
	v_and_b32_e32 v21, 0xffff, v22
	s_delay_alu instid0(VALU_DEP_4) | instskip(SKIP_2) | instid1(VALU_DEP_4)
	v_mul_lo_u16 v22, 0xf1, v25
	v_lshlrev_b64_e32 v[17:18], 2, v[17:18]
	v_add_co_ci_u32_e64 v16, null, s5, v16, vcc_lo
	v_add_nc_u32_e32 v45, v44, v21
	s_delay_alu instid0(VALU_DEP_4) | instskip(SKIP_2) | instid1(VALU_DEP_4)
	v_lshrrev_b16 v46, 13, v22
	v_ashrrev_i32_e32 v21, 31, v20
	v_add_co_u32 v17, vcc_lo, s4, v17
	v_mad_co_u64_u32 v[22:23], null, v45, s6, v[3:4]
	v_and_b32_e32 v23, 0xffff, v24
	v_mul_lo_u16 v24, v46, 34
	v_lshlrev_b64_e32 v[20:21], 2, v[20:21]
	s_wait_alu 0xfffd
	v_add_co_ci_u32_e64 v18, null, s5, v18, vcc_lo
	v_add_nc_u32_e32 v47, v45, v23
	v_sub_nc_u16 v27, v25, v24
	v_ashrrev_i32_e32 v23, 31, v22
	v_add_co_u32 v20, vcc_lo, s4, v20
	s_delay_alu instid0(VALU_DEP_4)
	v_mad_co_u64_u32 v[24:25], null, v47, s6, v[4:5]
	v_and_b32_e32 v25, 0xffff, v26
	v_and_b32_e32 v26, 0xff, v27
	v_lshlrev_b64_e32 v[22:23], 2, v[22:23]
	s_wait_alu 0xfffd
	v_add_co_ci_u32_e64 v21, null, s5, v21, vcc_lo
	v_add_nc_u32_e32 v48, v47, v25
	v_or_b32_e32 v32, 0x80, v26
	v_ashrrev_i32_e32 v25, 31, v24
	v_add_co_u32 v22, vcc_lo, s4, v22
	s_delay_alu instid0(VALU_DEP_4)
	v_mad_co_u64_u32 v[27:28], null, v48, s6, v[5:6]
	v_and_b32_e32 v28, 0xffff, v29
	v_mul_lo_u16 v29, 0xf1, v32
	v_lshlrev_b64_e32 v[24:25], 2, v[24:25]
	s_wait_alu 0xfffd
	v_add_co_ci_u32_e64 v23, null, s5, v23, vcc_lo
	v_add_nc_u32_e32 v49, v48, v28
	v_lshrrev_b16 v50, 13, v29
	v_ashrrev_i32_e32 v28, 31, v27
	v_add_co_u32 v24, vcc_lo, s4, v24
	s_delay_alu instid0(VALU_DEP_4)
	v_mad_co_u64_u32 v[29:30], null, v49, s6, v[6:7]
	v_and_b32_e32 v30, 0xffff, v31
	v_mul_lo_u16 v31, v50, 34
	v_lshlrev_b64_e32 v[27:28], 2, v[27:28]
	s_wait_alu 0xfffd
	v_add_co_ci_u32_e64 v25, null, s5, v25, vcc_lo
	v_add_nc_u32_e32 v51, v49, v30
	v_sub_nc_u16 v35, v32, v31
	v_ashrrev_i32_e32 v30, 31, v29
	v_add_co_u32 v27, vcc_lo, s4, v27
	s_delay_alu instid0(VALU_DEP_4) | instskip(NEXT) | instid1(VALU_DEP_4)
	v_add_nc_u32_e32 v52, v51, v36
	v_and_b32_e32 v33, 0xff, v35
	v_mad_co_u64_u32 v[31:32], null, v51, s6, v[7:8]
	v_lshlrev_b64_e32 v[29:30], 2, v[29:30]
	s_delay_alu instid0(VALU_DEP_4) | instskip(NEXT) | instid1(VALU_DEP_4)
	v_add_nc_u32_e32 v53, v52, v34
	v_or_b32_e32 v39, 0x80, v33
	s_wait_alu 0xfffd
	v_add_co_ci_u32_e64 v28, null, s5, v28, vcc_lo
	v_lshlrev_b32_e32 v2, 2, v2
	v_mad_co_u64_u32 v[36:37], null, v53, s6, v[9:10]
	v_mul_lo_u16 v35, 0xf1, v39
	v_ashrrev_i32_e32 v32, 31, v31
	v_add_co_u32 v29, vcc_lo, s4, v29
	s_wait_alu 0xfffd
	v_add_co_ci_u32_e64 v30, null, s5, v30, vcc_lo
	v_lshrrev_b16 v54, 13, v35
	v_mad_co_u64_u32 v[34:35], null, v52, s6, v[8:9]
	v_and_b32_e32 v35, 0xffff, v38
	v_lshlrev_b64_e32 v[31:32], 2, v[31:32]
	s_delay_alu instid0(VALU_DEP_4)
	v_mul_lo_u16 v37, v54, 34
	v_lshlrev_b32_e32 v4, 2, v4
	v_lshlrev_b32_e32 v5, 2, v5
	v_add_nc_u32_e32 v55, v53, v35
	v_ashrrev_i32_e32 v35, 31, v34
	v_sub_nc_u16 v56, v39, v37
	v_add_co_u32 v31, vcc_lo, s4, v31
	s_delay_alu instid0(VALU_DEP_4) | instskip(SKIP_1) | instid1(VALU_DEP_4)
	v_mad_co_u64_u32 v[38:39], null, v55, s6, v[10:11]
	v_and_b32_e32 v39, 0xffff, v40
	v_and_b32_e32 v40, 0xff, v56
	s_wait_alu 0xfffd
	v_add_co_ci_u32_e64 v32, null, s5, v32, vcc_lo
	s_clause 0x7
	global_load_b32 v56, v[15:16], off
	global_load_b32 v57, v[17:18], off
	;; [unrolled: 1-line block ×8, first 2 shown]
	v_add_nc_u32_e32 v63, v55, v39
	v_or_b32_e32 v24, 0x80, v40
	v_ashrrev_i32_e32 v37, 31, v36
	v_ashrrev_i32_e32 v39, 31, v38
	v_lshlrev_b64_e32 v[15:16], 2, v[34:35]
	v_mad_co_u64_u32 v[20:21], null, v63, s6, v[11:12]
	v_mul_lo_u16 v21, 0xf1, v24
	v_lshlrev_b64_e32 v[17:18], 2, v[36:37]
	v_lshlrev_b64_e32 v[22:23], 2, v[38:39]
	v_add_co_u32 v15, vcc_lo, s4, v15
	s_delay_alu instid0(VALU_DEP_4) | instskip(SKIP_4) | instid1(VALU_DEP_3)
	v_lshrrev_b16 v30, 13, v21
	v_ashrrev_i32_e32 v21, 31, v20
	s_wait_alu 0xfffd
	v_add_co_ci_u32_e64 v16, null, s5, v16, vcc_lo
	v_add_co_u32 v17, vcc_lo, s4, v17
	v_lshlrev_b64_e32 v[20:21], 2, v[20:21]
	s_wait_alu 0xfffd
	v_add_co_ci_u32_e64 v18, null, s5, v18, vcc_lo
	v_add_co_u32 v22, vcc_lo, s4, v22
	s_wait_alu 0xfffd
	v_add_co_ci_u32_e64 v23, null, s5, v23, vcc_lo
	v_add_co_u32 v20, vcc_lo, s4, v20
	s_wait_alu 0xfffd
	v_add_co_ci_u32_e64 v21, null, s5, v21, vcc_lo
	v_and_b32_e32 v25, 0xffff, v41
	v_and_b32_e32 v28, 0xffff, v42
	s_clause 0x3
	global_load_b32 v38, v[15:16], off
	global_load_b32 v39, v[17:18], off
	;; [unrolled: 1-line block ×4, first 2 shown]
	v_mul_lo_u16 v27, v30, 34
	v_lshlrev_b32_e32 v6, 2, v6
	v_add_nc_u32_e32 v36, v63, v25
	s_delay_alu instid0(VALU_DEP_3) | instskip(NEXT) | instid1(VALU_DEP_2)
	v_sub_nc_u16 v27, v24, v27
	v_mad_co_u64_u32 v[24:25], null, v36, s6, v[12:13]
	v_add_nc_u32_e32 v37, v36, v28
	s_delay_alu instid0(VALU_DEP_3) | instskip(SKIP_1) | instid1(VALU_DEP_3)
	v_and_b32_e32 v27, 0xff, v27
	v_mul_u32_u24_e32 v13, 0x88, v13
	v_mad_co_u64_u32 v[28:29], null, v37, s6, v[19:20]
	s_delay_alu instid0(VALU_DEP_3)
	v_or_b32_e32 v31, 0x80, v27
	v_ashrrev_i32_e32 v25, 31, v24
	v_and_b32_e32 v29, 0xffff, v46
	v_add3_u32 v13, 0, v13, v14
	v_mul_u32_u24_e32 v14, 0x88, v48
	v_mul_lo_u16 v34, 0xf1, v31
	v_lshlrev_b64_e32 v[15:16], 2, v[24:25]
	v_add_nc_u32_e32 v46, v37, v29
	v_ashrrev_i32_e32 v29, 31, v28
	s_delay_alu instid0(VALU_DEP_4) | instskip(NEXT) | instid1(VALU_DEP_3)
	v_lshrrev_b16 v25, 13, v34
	v_mad_co_u64_u32 v[17:18], null, v46, s6, v[26:27]
	v_and_b32_e32 v18, 0xffff, v50
	s_delay_alu instid0(VALU_DEP_3)
	v_mul_lo_u16 v22, v25, 34
	v_lshlrev_b64_e32 v[20:21], 2, v[28:29]
	v_and_b32_e32 v28, 0xffff, v54
	v_and_b32_e32 v25, 0xffff, v25
	v_add_nc_u32_e32 v50, v46, v18
	v_sub_nc_u16 v24, v31, v22
	v_ashrrev_i32_e32 v18, 31, v17
	v_add_co_u32 v15, vcc_lo, s4, v15
	s_delay_alu instid0(VALU_DEP_4) | instskip(NEXT) | instid1(VALU_DEP_4)
	v_mad_co_u64_u32 v[22:23], null, v50, s6, v[33:34]
	v_and_b32_e32 v24, 0xff, v24
	v_add_nc_u32_e32 v54, v50, v28
	v_and_b32_e32 v28, 0xffff, v30
	v_lshlrev_b64_e32 v[17:18], 2, v[17:18]
	s_wait_alu 0xfffd
	v_add_co_ci_u32_e64 v16, null, s5, v16, vcc_lo
	v_or_b32_e32 v34, 0x80, v24
	v_add_nc_u32_e32 v64, v54, v28
	v_ashrrev_i32_e32 v23, 31, v22
	v_add_co_u32 v20, vcc_lo, s4, v20
	s_delay_alu instid0(VALU_DEP_4)
	v_mul_lo_u16 v29, 0xf1, v34
	s_wait_alu 0xfffd
	v_add_co_ci_u32_e64 v21, null, s5, v21, vcc_lo
	v_lshlrev_b64_e32 v[22:23], 2, v[22:23]
	v_add_co_u32 v17, vcc_lo, s4, v17
	v_lshrrev_b16 v35, 13, v29
	v_add_nc_u32_e32 v65, v64, v25
	s_wait_alu 0xfffd
	v_add_co_ci_u32_e64 v18, null, s5, v18, vcc_lo
	v_add_co_u32 v22, vcc_lo, s4, v22
	v_and_b32_e32 v25, 0xffff, v35
	s_wait_alu 0xfffd
	v_add_co_ci_u32_e64 v23, null, s5, v23, vcc_lo
	s_delay_alu instid0(VALU_DEP_2) | instskip(SKIP_2) | instid1(VALU_DEP_1)
	v_add_nc_u32_e32 v67, v65, v25
	s_wait_loadcnt 0x1
	v_mad_co_u64_u32 v[28:29], null, v54, s6, v[40:41]
	v_mad_co_u64_u32 v[30:31], null, v64, s6, v[27:28]
	v_mul_lo_u16 v31, v35, 34
	v_ashrrev_i32_e32 v29, 31, v28
	s_delay_alu instid0(VALU_DEP_2) | instskip(SKIP_2) | instid1(VALU_DEP_3)
	v_sub_nc_u16 v66, v34, v31
	v_mad_co_u64_u32 v[34:35], null, v65, s6, v[24:25]
	v_ashrrev_i32_e32 v31, 31, v30
	v_and_b32_e32 v25, 0xff, v66
	s_clause 0x3
	global_load_b32 v66, v[15:16], off
	global_load_b32 v68, v[20:21], off
	;; [unrolled: 1-line block ×4, first 2 shown]
	v_lshlrev_b64_e32 v[15:16], 2, v[28:29]
	v_lshlrev_b64_e32 v[20:21], 2, v[30:31]
	v_ashrrev_i32_e32 v35, 31, v34
	v_mad_co_u64_u32 v[17:18], null, v67, s6, v[25:26]
	s_delay_alu instid0(VALU_DEP_4) | instskip(NEXT) | instid1(VALU_DEP_3)
	v_add_co_u32 v15, vcc_lo, s4, v15
	v_lshlrev_b64_e32 v[22:23], 2, v[34:35]
	s_wait_alu 0xfffd
	v_add_co_ci_u32_e64 v16, null, s5, v16, vcc_lo
	s_delay_alu instid0(VALU_DEP_4) | instskip(SKIP_3) | instid1(VALU_DEP_3)
	v_ashrrev_i32_e32 v18, 31, v17
	v_add_co_u32 v20, vcc_lo, s4, v20
	s_wait_alu 0xfffd
	v_add_co_ci_u32_e64 v21, null, s5, v21, vcc_lo
	v_lshlrev_b64_e32 v[17:18], 2, v[17:18]
	v_add_co_u32 v22, vcc_lo, s4, v22
	s_wait_alu 0xfffd
	v_add_co_ci_u32_e64 v23, null, s5, v23, vcc_lo
	s_delay_alu instid0(VALU_DEP_3)
	v_add_co_u32 v17, vcc_lo, s4, v17
	s_wait_alu 0xfffd
	v_add_co_ci_u32_e64 v18, null, s5, v18, vcc_lo
	s_clause 0x3
	global_load_b32 v15, v[15:16], off
	global_load_b32 v16, v[20:21], off
	;; [unrolled: 1-line block ×4, first 2 shown]
	v_mul_u32_u24_e32 v18, 0x88, v43
	v_mul_u32_u24_e32 v21, 0x88, v44
	s_delay_alu instid0(VALU_DEP_2) | instskip(NEXT) | instid1(VALU_DEP_2)
	v_add3_u32 v1, 0, v18, v1
	v_add3_u32 v2, 0, v21, v2
	ds_store_b32 v13, v56
	ds_store_b32 v1, v57
	;; [unrolled: 1-line block ×3, first 2 shown]
	v_mul_u32_u24_e32 v1, 0x88, v45
	v_lshlrev_b32_e32 v2, 2, v3
	v_mul_u32_u24_e32 v3, 0x88, v47
	v_mul_lo_u32 v13, 0x88, v49
	s_delay_alu instid0(VALU_DEP_3) | instskip(NEXT) | instid1(VALU_DEP_3)
	v_add3_u32 v1, 0, v1, v2
	v_add3_u32 v2, 0, v3, v4
	v_mul_lo_u32 v3, 0x88, v51
	v_add3_u32 v4, 0, v14, v5
	v_add3_u32 v5, 0, v13, v6
	v_lshlrev_b32_e32 v6, 2, v7
	ds_store_b32 v1, v59
	ds_store_b32 v2, v60
	;; [unrolled: 1-line block ×4, first 2 shown]
	v_mul_lo_u32 v2, 0x88, v52
	v_mul_lo_u32 v4, 0x88, v53
	v_lshlrev_b32_e32 v5, 2, v9
	v_add3_u32 v1, 0, v3, v6
	v_lshlrev_b32_e32 v3, 2, v8
	v_mul_lo_u32 v6, 0x88, v55
	v_mul_lo_u32 v7, 0x88, v63
	v_lshlrev_b32_e32 v8, 2, v11
	ds_store_b32 v1, v32
	v_lshlrev_b32_e32 v1, 2, v10
	v_add3_u32 v2, 0, v2, v3
	v_add3_u32 v3, 0, v4, v5
	v_mul_lo_u32 v4, 0x88, v36
	v_lshlrev_b32_e32 v9, 2, v24
	v_add3_u32 v1, 0, v6, v1
	v_lshlrev_b32_e32 v6, 2, v12
	v_add3_u32 v5, 0, v7, v8
	ds_store_b32 v2, v38
	ds_store_b32 v3, v39
	;; [unrolled: 1-line block ×3, first 2 shown]
	s_wait_loadcnt 0x8
	ds_store_b32 v5, v42
	v_mul_lo_u32 v2, 0x88, v37
	v_add3_u32 v1, 0, v4, v6
	v_mul_lo_u32 v5, 0x88, v50
	v_mul_lo_u32 v3, 0x88, v46
	v_lshlrev_b32_e32 v4, 2, v19
	v_or_b32_e32 v7, 0x80, v25
	v_lshlrev_b32_e32 v6, 2, v26
	v_lshlrev_b32_e32 v8, 2, v27
	;; [unrolled: 1-line block ×3, first 2 shown]
	v_add3_u32 v2, 0, v2, v4
	v_mul_lo_u32 v4, 0x88, v54
	v_add3_u32 v3, 0, v3, v6
	v_lshlrev_b32_e32 v6, 2, v40
	s_wait_loadcnt 0x7
	ds_store_b32 v1, v66
	v_lshlrev_b32_e32 v1, 2, v33
	s_delay_alu instid0(VALU_DEP_1)
	v_add3_u32 v1, 0, v5, v1
	v_mul_lo_u16 v5, 0xf1, v7
	s_wait_loadcnt 0x6
	ds_store_b32 v2, v68
	s_wait_loadcnt 0x5
	ds_store_b32 v3, v69
	;; [unrolled: 2-line block ×3, first 2 shown]
	v_add3_u32 v3, 0, v4, v6
	v_mul_lo_u32 v4, 0x88, v64
	v_lshrrev_b16 v1, 13, v5
	v_mul_lo_u32 v5, 0x88, v65
	v_mul_lo_u32 v6, 0x88, v67
	s_delay_alu instid0(VALU_DEP_3) | instskip(SKIP_3) | instid1(VALU_DEP_4)
	v_mul_lo_u16 v2, v1, 34
	v_and_b32_e32 v1, 0xffff, v1
	v_add3_u32 v4, 0, v4, v8
	v_add3_u32 v5, 0, v5, v9
	v_sub_nc_u16 v7, v7, v2
	s_delay_alu instid0(VALU_DEP_4)
	v_add_nc_u32_e32 v2, v67, v1
	v_add3_u32 v6, 0, v6, v10
	s_wait_loadcnt 0x3
	ds_store_b32 v3, v15
	s_wait_loadcnt 0x2
	ds_store_b32 v4, v16
	;; [unrolled: 2-line block ×4, first 2 shown]
	v_and_b32_e32 v1, 0xff, v7
	v_cmpx_gt_u32_e32 0x80, v2
	s_cbranch_execz .LBB11_2
; %bb.1:
	s_delay_alu instid0(VALU_DEP_2) | instskip(SKIP_1) | instid1(VALU_DEP_2)
	v_mad_co_u64_u32 v[3:4], null, v2, s6, v[1:2]
	v_lshlrev_b32_e32 v5, 2, v1
	v_ashrrev_i32_e32 v4, 31, v3
	s_delay_alu instid0(VALU_DEP_1) | instskip(NEXT) | instid1(VALU_DEP_1)
	v_lshlrev_b64_e32 v[3:4], 2, v[3:4]
	v_add_co_u32 v3, vcc_lo, s4, v3
	s_wait_alu 0xfffd
	s_delay_alu instid0(VALU_DEP_2) | instskip(SKIP_2) | instid1(VALU_DEP_1)
	v_add_co_ci_u32_e64 v4, null, s5, v4, vcc_lo
	global_load_b32 v3, v[3:4], off
	v_mul_lo_u32 v4, 0x88, v2
	v_add3_u32 v4, 0, v4, v5
	s_wait_loadcnt 0x0
	ds_store_b32 v4, v3
.LBB11_2:
	s_or_b32 exec_lo, exec_lo, s8
	s_delay_alu instid0(VALU_DEP_2) | instskip(SKIP_1) | instid1(VALU_DEP_1)
	v_or_b32_e32 v1, 0x80, v1
	s_mov_b32 s8, exec_lo
	v_mul_lo_u16 v3, 0xf1, v1
	s_delay_alu instid0(VALU_DEP_1) | instskip(NEXT) | instid1(VALU_DEP_1)
	v_lshrrev_b16 v3, 13, v3
	v_mul_lo_u16 v4, v3, 34
	v_and_b32_e32 v3, 0xffff, v3
	s_delay_alu instid0(VALU_DEP_2) | instskip(NEXT) | instid1(VALU_DEP_2)
	v_sub_nc_u16 v1, v1, v4
	v_add_nc_u32_e32 v2, v2, v3
	s_delay_alu instid0(VALU_DEP_2) | instskip(NEXT) | instid1(VALU_DEP_2)
	v_and_b32_e32 v1, 0xff, v1
	v_cmpx_gt_u32_e32 0x80, v2
	s_cbranch_execz .LBB11_4
; %bb.3:
	s_delay_alu instid0(VALU_DEP_2) | instskip(SKIP_1) | instid1(VALU_DEP_2)
	v_mad_co_u64_u32 v[3:4], null, v2, s6, v[1:2]
	v_lshlrev_b32_e32 v5, 2, v1
	v_ashrrev_i32_e32 v4, 31, v3
	s_delay_alu instid0(VALU_DEP_1) | instskip(NEXT) | instid1(VALU_DEP_1)
	v_lshlrev_b64_e32 v[3:4], 2, v[3:4]
	v_add_co_u32 v3, vcc_lo, s4, v3
	s_wait_alu 0xfffd
	s_delay_alu instid0(VALU_DEP_2) | instskip(SKIP_2) | instid1(VALU_DEP_1)
	v_add_co_ci_u32_e64 v4, null, s5, v4, vcc_lo
	global_load_b32 v3, v[3:4], off
	v_mul_lo_u32 v4, 0x88, v2
	v_add3_u32 v4, 0, v4, v5
	s_wait_loadcnt 0x0
	ds_store_b32 v4, v3
.LBB11_4:
	s_or_b32 exec_lo, exec_lo, s8
	s_delay_alu instid0(VALU_DEP_2) | instskip(SKIP_1) | instid1(VALU_DEP_1)
	v_or_b32_e32 v1, 0x80, v1
	s_mov_b32 s8, exec_lo
	v_mul_lo_u16 v3, 0xf1, v1
	s_delay_alu instid0(VALU_DEP_1) | instskip(NEXT) | instid1(VALU_DEP_1)
	v_lshrrev_b16 v3, 13, v3
	v_mul_lo_u16 v4, v3, 34
	v_and_b32_e32 v3, 0xffff, v3
	s_delay_alu instid0(VALU_DEP_2) | instskip(NEXT) | instid1(VALU_DEP_2)
	v_sub_nc_u16 v1, v1, v4
	v_add_nc_u32_e32 v2, v2, v3
	s_delay_alu instid0(VALU_DEP_2) | instskip(NEXT) | instid1(VALU_DEP_2)
	;; [unrolled: 33-line block ×6, first 2 shown]
	v_and_b32_e32 v1, 0xff, v1
	v_cmpx_gt_u32_e32 0x80, v2
	s_cbranch_execz .LBB11_14
; %bb.13:
	s_delay_alu instid0(VALU_DEP_2) | instskip(SKIP_1) | instid1(VALU_DEP_2)
	v_mad_co_u64_u32 v[3:4], null, v2, s6, v[1:2]
	v_lshlrev_b32_e32 v5, 2, v1
	v_ashrrev_i32_e32 v4, 31, v3
	s_delay_alu instid0(VALU_DEP_1) | instskip(NEXT) | instid1(VALU_DEP_1)
	v_lshlrev_b64_e32 v[3:4], 2, v[3:4]
	v_add_co_u32 v3, vcc_lo, s4, v3
	s_wait_alu 0xfffd
	s_delay_alu instid0(VALU_DEP_2) | instskip(SKIP_2) | instid1(VALU_DEP_1)
	v_add_co_ci_u32_e64 v4, null, s5, v4, vcc_lo
	global_load_b32 v3, v[3:4], off
	v_mul_lo_u32 v4, 0x88, v2
	v_add3_u32 v4, 0, v4, v5
	s_wait_loadcnt 0x0
	ds_store_b32 v4, v3
.LBB11_14:
	s_or_b32 exec_lo, exec_lo, s8
	s_delay_alu instid0(SALU_CYCLE_1)
	s_mov_b32 s8, exec_lo
	v_cmpx_gt_u32_e32 0x380, v0
	s_cbranch_execz .LBB11_35
; %bb.15:
	v_or_b32_e32 v1, 0x80, v1
	s_mov_b32 s9, exec_lo
	s_delay_alu instid0(VALU_DEP_1) | instskip(NEXT) | instid1(VALU_DEP_1)
	v_mul_lo_u16 v3, 0xf1, v1
	v_lshrrev_b16 v3, 13, v3
	s_delay_alu instid0(VALU_DEP_1) | instskip(SKIP_1) | instid1(VALU_DEP_2)
	v_mul_lo_u16 v4, v3, 34
	v_and_b32_e32 v3, 0xffff, v3
	v_sub_nc_u16 v1, v1, v4
	s_delay_alu instid0(VALU_DEP_2) | instskip(NEXT) | instid1(VALU_DEP_2)
	v_add_nc_u32_e32 v2, v2, v3
	v_and_b32_e32 v1, 0xff, v1
	s_delay_alu instid0(VALU_DEP_2)
	v_cmpx_gt_u32_e32 0x80, v2
	s_cbranch_execz .LBB11_17
; %bb.16:
	s_delay_alu instid0(VALU_DEP_2) | instskip(SKIP_1) | instid1(VALU_DEP_2)
	v_mad_co_u64_u32 v[3:4], null, v2, s6, v[1:2]
	v_lshlrev_b32_e32 v5, 2, v1
	v_ashrrev_i32_e32 v4, 31, v3
	s_delay_alu instid0(VALU_DEP_1) | instskip(NEXT) | instid1(VALU_DEP_1)
	v_lshlrev_b64_e32 v[3:4], 2, v[3:4]
	v_add_co_u32 v3, vcc_lo, s4, v3
	s_wait_alu 0xfffd
	s_delay_alu instid0(VALU_DEP_2) | instskip(SKIP_2) | instid1(VALU_DEP_1)
	v_add_co_ci_u32_e64 v4, null, s5, v4, vcc_lo
	global_load_b32 v3, v[3:4], off
	v_mul_lo_u32 v4, 0x88, v2
	v_add3_u32 v4, 0, v4, v5
	s_wait_loadcnt 0x0
	ds_store_b32 v4, v3
.LBB11_17:
	s_or_b32 exec_lo, exec_lo, s9
	v_cmp_gt_u32_e32 vcc_lo, 0x300, v0
	s_and_b32 exec_lo, exec_lo, vcc_lo
	s_cbranch_execz .LBB11_35
; %bb.18:
	v_or_b32_e32 v1, 0x80, v1
	s_mov_b32 s9, exec_lo
	s_delay_alu instid0(VALU_DEP_1) | instskip(NEXT) | instid1(VALU_DEP_1)
	v_mul_lo_u16 v3, 0xf1, v1
	v_lshrrev_b16 v3, 13, v3
	s_delay_alu instid0(VALU_DEP_1) | instskip(SKIP_1) | instid1(VALU_DEP_2)
	v_mul_lo_u16 v4, v3, 34
	v_and_b32_e32 v3, 0xffff, v3
	v_sub_nc_u16 v1, v1, v4
	s_delay_alu instid0(VALU_DEP_2) | instskip(NEXT) | instid1(VALU_DEP_2)
	v_add_nc_u32_e32 v2, v2, v3
	v_and_b32_e32 v1, 0xff, v1
	s_delay_alu instid0(VALU_DEP_2)
	v_cmpx_gt_u32_e32 0x80, v2
	s_cbranch_execz .LBB11_20
; %bb.19:
	s_delay_alu instid0(VALU_DEP_2) | instskip(SKIP_1) | instid1(VALU_DEP_2)
	v_mad_co_u64_u32 v[3:4], null, v2, s6, v[1:2]
	v_lshlrev_b32_e32 v5, 2, v1
	v_ashrrev_i32_e32 v4, 31, v3
	s_delay_alu instid0(VALU_DEP_1) | instskip(NEXT) | instid1(VALU_DEP_1)
	v_lshlrev_b64_e32 v[3:4], 2, v[3:4]
	v_add_co_u32 v3, vcc_lo, s4, v3
	s_wait_alu 0xfffd
	s_delay_alu instid0(VALU_DEP_2) | instskip(SKIP_2) | instid1(VALU_DEP_1)
	v_add_co_ci_u32_e64 v4, null, s5, v4, vcc_lo
	global_load_b32 v3, v[3:4], off
	v_mul_lo_u32 v4, 0x88, v2
	v_add3_u32 v4, 0, v4, v5
	s_wait_loadcnt 0x0
	ds_store_b32 v4, v3
.LBB11_20:
	s_or_b32 exec_lo, exec_lo, s9
	v_cmp_gt_u32_e32 vcc_lo, 0x280, v0
	s_and_b32 exec_lo, exec_lo, vcc_lo
	;; [unrolled: 37-line block ×6, first 2 shown]
	s_cbranch_execz .LBB11_35
; %bb.33:
	v_or_b32_e32 v3, 0x80, v1
	s_delay_alu instid0(VALU_DEP_1) | instskip(NEXT) | instid1(VALU_DEP_1)
	v_mul_lo_u16 v1, 0xf1, v3
	v_lshrrev_b16 v4, 13, v1
	s_delay_alu instid0(VALU_DEP_1) | instskip(NEXT) | instid1(VALU_DEP_1)
	v_and_b32_e32 v1, 0xffff, v4
	v_add_nc_u32_e32 v1, v2, v1
	s_delay_alu instid0(VALU_DEP_1)
	v_cmp_gt_u32_e32 vcc_lo, 0x80, v1
	s_and_b32 exec_lo, exec_lo, vcc_lo
	s_cbranch_execz .LBB11_35
; %bb.34:
	v_mul_lo_u16 v2, v4, 34
	s_delay_alu instid0(VALU_DEP_1) | instskip(NEXT) | instid1(VALU_DEP_1)
	v_sub_nc_u16 v2, v3, v2
	v_and_b32_e32 v2, 0xff, v2
	s_delay_alu instid0(VALU_DEP_1) | instskip(SKIP_2) | instid1(VALU_DEP_3)
	v_mad_co_u64_u32 v[3:4], null, v1, s6, v[2:3]
	v_mul_lo_u32 v1, 0x88, v1
	v_lshlrev_b32_e32 v2, 2, v2
	v_ashrrev_i32_e32 v4, 31, v3
	s_delay_alu instid0(VALU_DEP_2) | instskip(NEXT) | instid1(VALU_DEP_2)
	v_add3_u32 v1, 0, v1, v2
	v_lshlrev_b64_e32 v[3:4], 2, v[3:4]
	s_delay_alu instid0(VALU_DEP_1) | instskip(SKIP_1) | instid1(VALU_DEP_2)
	v_add_co_u32 v3, vcc_lo, s4, v3
	s_wait_alu 0xfffd
	v_add_co_ci_u32_e64 v4, null, s5, v4, vcc_lo
	global_load_b32 v3, v[3:4], off
	s_wait_loadcnt 0x0
	ds_store_b32 v1, v3
.LBB11_35:
	s_or_b32 exec_lo, exec_lo, s8
	s_clause 0x1
	s_load_b128 s[8:11], s[0:1], 0x8
	s_load_b64 s[4:5], s[0:1], 0x28
	s_ashr_i32 s6, s7, 2
	s_ashr_i32 s15, s7, 31
	s_wait_alu 0xfffe
	v_mul_lo_u32 v1, s6, v0
	s_mov_b32 s14, s7
	s_wait_dscnt 0x0
	s_mul_u64 s[6:7], s[2:3], s[14:15]
	s_barrier_signal -1
	s_barrier_wait -1
	global_inv scope:SCOPE_SE
	v_lshlrev_b32_e32 v5, 2, v0
	v_ashrrev_i32_e32 v2, 31, v1
	s_delay_alu instid0(VALU_DEP_1)
	v_lshlrev_b64_e32 v[1:2], 2, v[1:2]
	s_wait_kmcnt 0x0
	s_wait_alu 0xfffe
	s_add_nc_u64 s[6:7], s[8:9], s[6:7]
	s_cmp_eq_u64 s[10:11], 0
	s_wait_alu 0xfffe
	v_add_co_u32 v1, vcc_lo, s6, v1
	s_wait_alu 0xfffd
	v_add_co_ci_u32_e64 v2, null, s7, v2, vcc_lo
	global_load_b96 v[1:3], v[1:2], off
	s_cbranch_scc1 .LBB11_37
; %bb.36:
	s_lshl_b32 s6, s2, 2
	s_mov_b32 s7, 0
	s_wait_alu 0xfffe
	s_add_nc_u64 s[6:7], s[10:11], s[6:7]
	global_load_b32 v8, v5, s[6:7]
	s_branch .LBB11_38
.LBB11_37:
	v_mov_b32_e32 v8, 0
.LBB11_38:
	s_load_b64 s[6:7], s[0:1], 0x40
	s_wait_kmcnt 0x0
	s_sub_nc_u64 s[6:7], s[6:7], s[12:13]
	s_wait_alu 0xfffe
	v_cmp_lt_i64_e64 s8, s[6:7], 1
	s_and_b32 vcc_lo, exec_lo, s8
	s_wait_alu 0xfffe
	s_cbranch_vccnz .LBB11_41
; %bb.39:
	s_load_b96 s[8:10], s[0:1], 0x30
	v_mad_u32_u24 v0, 0x88, v0, 0
	v_cmp_lt_u64_e64 s16, s[6:7], 32
	ds_load_b32 v4, v0
	s_wait_kmcnt 0x0
	s_mul_i32 s0, s10, ttmp9
	s_ashr_i32 s11, s9, 31
	s_mov_b32 s10, s9
	s_ashr_i32 s1, s0, 31
	s_ashr_i32 s15, s8, 31
	s_mov_b32 s14, s8
	s_mul_u64 s[10:11], s[12:13], s[10:11]
	s_add_nc_u64 s[0:1], s[4:5], s[0:1]
	s_mul_u64 s[2:3], s[2:3], s[14:15]
	s_add_nc_u64 s[0:1], s[0:1], s[10:11]
	s_ashr_i32 s4, s9, 2
	s_add_nc_u64 s[0:1], s[0:1], s[2:3]
	s_wait_alu 0xfffe
	s_ashr_i32 s5, s4, 31
	v_add_co_u32 v6, s0, s0, v5
	s_wait_alu 0xf1ff
	v_add_co_ci_u32_e64 v7, null, s1, 0, s0
	s_and_b32 s0, s16, exec_lo
	s_cselect_b32 s1, s7, 0
	s_cselect_b32 s0, s6, 32
	s_wait_alu 0xfffe
	s_lshl_b64 s[2:3], s[4:5], 2
.LBB11_40:                              ; =>This Inner Loop Header: Depth=1
	s_wait_loadcnt_dscnt 0x0
	v_fma_f32 v9, v1, v4, 0
	ds_load_2addr_b32 v[4:5], v0 offset0:1 offset1:2
	s_add_nc_u64 s[0:1], s[0:1], -1
	s_wait_alu 0xfffe
	s_cmp_lg_u64 s[0:1], 0
	s_wait_dscnt 0x0
	v_fmac_f32_e32 v9, v2, v4
	s_delay_alu instid0(VALU_DEP_1) | instskip(NEXT) | instid1(VALU_DEP_1)
	v_dual_fmac_f32 v9, v3, v5 :: v_dual_add_nc_u32 v0, 4, v0
	v_add_f32_e32 v5, v8, v9
	global_store_b32 v[6:7], v5, off
	v_add_co_u32 v6, vcc_lo, v6, s2
	s_wait_alu 0xfffd
	v_add_co_ci_u32_e64 v7, null, s3, v7, vcc_lo
	s_cbranch_scc1 .LBB11_40
.LBB11_41:
	s_endpgm
	.section	.rodata,"a",@progbits
	.p2align	6, 0x0
	.amdhsa_kernel _ZL23ssm_conv_long_token_f32ILb0ELm128ELm3ELl32EEvPKfS1_S1_iiiiPfiiil
		.amdhsa_group_segment_fixed_size 0
		.amdhsa_private_segment_fixed_size 0
		.amdhsa_kernarg_size 72
		.amdhsa_user_sgpr_count 2
		.amdhsa_user_sgpr_dispatch_ptr 0
		.amdhsa_user_sgpr_queue_ptr 0
		.amdhsa_user_sgpr_kernarg_segment_ptr 1
		.amdhsa_user_sgpr_dispatch_id 0
		.amdhsa_user_sgpr_private_segment_size 0
		.amdhsa_wavefront_size32 1
		.amdhsa_uses_dynamic_stack 0
		.amdhsa_enable_private_segment 0
		.amdhsa_system_sgpr_workgroup_id_x 1
		.amdhsa_system_sgpr_workgroup_id_y 1
		.amdhsa_system_sgpr_workgroup_id_z 1
		.amdhsa_system_sgpr_workgroup_info 0
		.amdhsa_system_vgpr_workitem_id 0
		.amdhsa_next_free_vgpr 71
		.amdhsa_next_free_sgpr 18
		.amdhsa_reserve_vcc 1
		.amdhsa_float_round_mode_32 0
		.amdhsa_float_round_mode_16_64 0
		.amdhsa_float_denorm_mode_32 3
		.amdhsa_float_denorm_mode_16_64 3
		.amdhsa_fp16_overflow 0
		.amdhsa_workgroup_processor_mode 1
		.amdhsa_memory_ordered 1
		.amdhsa_forward_progress 1
		.amdhsa_inst_pref_size 52
		.amdhsa_round_robin_scheduling 0
		.amdhsa_exception_fp_ieee_invalid_op 0
		.amdhsa_exception_fp_denorm_src 0
		.amdhsa_exception_fp_ieee_div_zero 0
		.amdhsa_exception_fp_ieee_overflow 0
		.amdhsa_exception_fp_ieee_underflow 0
		.amdhsa_exception_fp_ieee_inexact 0
		.amdhsa_exception_int_div_zero 0
	.end_amdhsa_kernel
	.section	.text._ZL23ssm_conv_long_token_f32ILb0ELm128ELm3ELl32EEvPKfS1_S1_iiiiPfiiil,"axG",@progbits,_ZL23ssm_conv_long_token_f32ILb0ELm128ELm3ELl32EEvPKfS1_S1_iiiiPfiiil,comdat
.Lfunc_end11:
	.size	_ZL23ssm_conv_long_token_f32ILb0ELm128ELm3ELl32EEvPKfS1_S1_iiiiPfiiil, .Lfunc_end11-_ZL23ssm_conv_long_token_f32ILb0ELm128ELm3ELl32EEvPKfS1_S1_iiiiPfiiil
                                        ; -- End function
	.set _ZL23ssm_conv_long_token_f32ILb0ELm128ELm3ELl32EEvPKfS1_S1_iiiiPfiiil.num_vgpr, 71
	.set _ZL23ssm_conv_long_token_f32ILb0ELm128ELm3ELl32EEvPKfS1_S1_iiiiPfiiil.num_agpr, 0
	.set _ZL23ssm_conv_long_token_f32ILb0ELm128ELm3ELl32EEvPKfS1_S1_iiiiPfiiil.numbered_sgpr, 18
	.set _ZL23ssm_conv_long_token_f32ILb0ELm128ELm3ELl32EEvPKfS1_S1_iiiiPfiiil.num_named_barrier, 0
	.set _ZL23ssm_conv_long_token_f32ILb0ELm128ELm3ELl32EEvPKfS1_S1_iiiiPfiiil.private_seg_size, 0
	.set _ZL23ssm_conv_long_token_f32ILb0ELm128ELm3ELl32EEvPKfS1_S1_iiiiPfiiil.uses_vcc, 1
	.set _ZL23ssm_conv_long_token_f32ILb0ELm128ELm3ELl32EEvPKfS1_S1_iiiiPfiiil.uses_flat_scratch, 0
	.set _ZL23ssm_conv_long_token_f32ILb0ELm128ELm3ELl32EEvPKfS1_S1_iiiiPfiiil.has_dyn_sized_stack, 0
	.set _ZL23ssm_conv_long_token_f32ILb0ELm128ELm3ELl32EEvPKfS1_S1_iiiiPfiiil.has_recursion, 0
	.set _ZL23ssm_conv_long_token_f32ILb0ELm128ELm3ELl32EEvPKfS1_S1_iiiiPfiiil.has_indirect_call, 0
	.section	.AMDGPU.csdata,"",@progbits
; Kernel info:
; codeLenInByte = 6552
; TotalNumSgprs: 20
; NumVgprs: 71
; ScratchSize: 0
; MemoryBound: 0
; FloatMode: 240
; IeeeMode: 1
; LDSByteSize: 0 bytes/workgroup (compile time only)
; SGPRBlocks: 0
; VGPRBlocks: 8
; NumSGPRsForWavesPerEU: 20
; NumVGPRsForWavesPerEU: 71
; Occupancy: 16
; WaveLimiterHint : 0
; COMPUTE_PGM_RSRC2:SCRATCH_EN: 0
; COMPUTE_PGM_RSRC2:USER_SGPR: 2
; COMPUTE_PGM_RSRC2:TRAP_HANDLER: 0
; COMPUTE_PGM_RSRC2:TGID_X_EN: 1
; COMPUTE_PGM_RSRC2:TGID_Y_EN: 1
; COMPUTE_PGM_RSRC2:TGID_Z_EN: 1
; COMPUTE_PGM_RSRC2:TIDIG_COMP_CNT: 0
	.section	.text._ZL12ssm_conv_f32ILb0ELm128ELm4EEvPKfS1_S1_iiiiPfiiil,"axG",@progbits,_ZL12ssm_conv_f32ILb0ELm128ELm4EEvPKfS1_S1_iiiiPfiiil,comdat
	.globl	_ZL12ssm_conv_f32ILb0ELm128ELm4EEvPKfS1_S1_iiiiPfiiil ; -- Begin function _ZL12ssm_conv_f32ILb0ELm128ELm4EEvPKfS1_S1_iiiiPfiiil
	.p2align	8
	.type	_ZL12ssm_conv_f32ILb0ELm128ELm4EEvPKfS1_S1_iiiiPfiiil,@function
_ZL12ssm_conv_f32ILb0ELm128ELm4EEvPKfS1_S1_iiiiPfiiil: ; @_ZL12ssm_conv_f32ILb0ELm128ELm4EEvPKfS1_S1_iiiiPfiiil
; %bb.0:
	s_load_b64 s[2:3], s[0:1], 0x10
	s_mov_b32 s4, ttmp7
	s_ashr_i32 s5, ttmp7, 31
	v_lshlrev_b32_e32 v10, 2, v0
	s_lshl_b64 s[12:13], s[4:5], 7
	s_wait_kmcnt 0x0
	s_cmp_eq_u64 s[2:3], 0
	s_cbranch_scc1 .LBB12_2
; %bb.1:
	s_lshl_b64 s[4:5], s[12:13], 2
	s_delay_alu instid0(SALU_CYCLE_1)
	s_add_nc_u64 s[2:3], s[2:3], s[4:5]
	global_load_b32 v12, v10, s[2:3]
	s_load_b64 s[2:3], s[0:1], 0x40
	s_wait_kmcnt 0x0
	v_cmp_lt_i64_e64 s4, s[2:3], 1
	s_and_b32 vcc_lo, exec_lo, s4
	s_cbranch_vccz .LBB12_3
	s_branch .LBB12_6
.LBB12_2:
	v_mov_b32_e32 v12, 0
	s_load_b64 s[2:3], s[0:1], 0x40
	s_wait_kmcnt 0x0
	v_cmp_lt_i64_e64 s4, s[2:3], 1
	s_and_b32 vcc_lo, exec_lo, s4
	s_cbranch_vccnz .LBB12_6
.LBB12_3:
	s_clause 0x1
	s_load_b96 s[8:10], s[0:1], 0x1c
	s_load_b128 s[4:7], s[0:1], 0x0
	s_wait_kmcnt 0x0
	s_ashr_i32 s11, s10, 2
	s_ashr_i32 s14, s8, 2
	v_mul_lo_u32 v1, s11, v0
	v_mul_lo_u32 v3, s14, v0
	s_ashr_i32 s11, s10, 31
	s_mul_i32 s14, s9, ttmp9
	s_ashr_i32 s9, s8, 31
	s_wait_alu 0xfffe
	s_mul_u64 s[10:11], s[12:13], s[10:11]
	s_ashr_i32 s15, s14, 31
	s_mul_u64 s[8:9], s[12:13], s[8:9]
	v_ashrrev_i32_e32 v2, 31, v1
	v_ashrrev_i32_e32 v4, 31, v3
	s_wait_alu 0xfffe
	s_add_nc_u64 s[4:5], s[4:5], s[14:15]
	s_add_nc_u64 s[6:7], s[6:7], s[10:11]
	;; [unrolled: 1-line block ×3, first 2 shown]
	v_lshlrev_b64_e32 v[0:1], 2, v[1:2]
	v_lshlrev_b64_e32 v[2:3], 2, v[3:4]
	s_delay_alu instid0(VALU_DEP_2) | instskip(NEXT) | instid1(VALU_DEP_1)
	v_add_co_u32 v0, vcc_lo, s6, v0
	v_add_co_ci_u32_e64 v1, null, s7, v1, vcc_lo
	s_delay_alu instid0(VALU_DEP_3) | instskip(SKIP_1) | instid1(VALU_DEP_4)
	v_add_co_u32 v8, vcc_lo, s4, v2
	s_wait_alu 0xfffd
	v_add_co_ci_u32_e64 v9, null, s5, v3, vcc_lo
	global_load_b128 v[0:3], v[0:1], off
	global_load_b128 v[4:7], v[8:9], off
	s_clause 0x1
	s_load_b96 s[4:6], s[0:1], 0x30
	s_load_b64 s[0:1], s[0:1], 0x28
	s_wait_kmcnt 0x0
	s_mul_i32 s6, s6, ttmp9
	s_ashr_i32 s9, s4, 31
	s_wait_alu 0xfffe
	s_ashr_i32 s7, s6, 31
	s_mov_b32 s8, s4
	s_wait_alu 0xfffe
	s_add_nc_u64 s[0:1], s[0:1], s[6:7]
	s_mul_u64 s[6:7], s[12:13], s[8:9]
	s_cmp_eq_u64 s[2:3], 1
	s_wait_alu 0xfffe
	s_add_nc_u64 s[8:9], s[0:1], s[6:7]
	s_wait_loadcnt 0x0
	v_fma_f32 v11, v0, v4, 0
	s_delay_alu instid0(VALU_DEP_1) | instskip(NEXT) | instid1(VALU_DEP_1)
	v_fmac_f32_e32 v11, v1, v5
	v_fmac_f32_e32 v11, v2, v6
	s_delay_alu instid0(VALU_DEP_1) | instskip(NEXT) | instid1(VALU_DEP_1)
	v_fmac_f32_e32 v11, v3, v7
	v_add_f32_e32 v11, v12, v11
	global_store_b32 v10, v11, s[8:9]
	s_cbranch_scc1 .LBB12_6
; %bb.4:
	s_ashr_i32 s4, s5, 2
	v_add_co_u32 v8, vcc_lo, v8, 16
	s_wait_alu 0xfffe
	s_ashr_i32 s5, s4, 31
	s_wait_alu 0xfffd
	v_add_co_ci_u32_e64 v9, null, 0, v9, vcc_lo
	s_wait_alu 0xfffe
	s_lshl_b64 s[4:5], s[4:5], 2
	s_mov_b64 s[10:11], 0
	s_wait_alu 0xfffe
	s_add_nc_u64 s[6:7], s[6:7], s[4:5]
	s_wait_alu 0xfffe
	s_add_nc_u64 s[0:1], s[0:1], s[6:7]
	s_add_nc_u64 s[6:7], s[2:3], -1
	v_add_co_u32 v10, s0, s0, v10
	s_wait_alu 0xf1ff
	v_add_co_ci_u32_e64 v11, null, s1, 0, s0
.LBB12_5:                               ; =>This Inner Loop Header: Depth=1
	global_load_b32 v13, v[8:9], off
	s_add_co_i32 s0, s10, 4
	v_add_co_u32 v8, vcc_lo, v8, 4
	s_wait_alu 0xfffe
	s_and_b32 s2, s0, 3
	s_wait_alu 0xfffd
	v_add_co_ci_u32_e64 v9, null, 0, v9, vcc_lo
	s_wait_alu 0xfffe
	s_cmp_eq_u32 s2, 3
	s_add_nc_u64 s[8:9], s[10:11], 1
	s_cselect_b32 vcc_lo, -1, 0
	s_cmp_eq_u32 s2, 2
	s_cselect_b32 s0, -1, 0
	s_cmp_eq_u32 s2, 1
	s_cselect_b32 s1, -1, 0
	;; [unrolled: 2-line block ×3, first 2 shown]
	s_and_b32 s3, s8, 3
	s_wait_alu 0xfffe
	s_cmp_eq_u32 s3, 1
	s_wait_loadcnt 0x0
	v_cndmask_b32_e64 v5, v5, v13, s1
	v_cndmask_b32_e64 v4, v4, v13, s2
	;; [unrolled: 1-line block ×3, first 2 shown]
	v_cndmask_b32_e32 v7, v7, v13, vcc_lo
	s_cselect_b32 vcc_lo, -1, 0
	s_cmp_eq_u32 s3, 2
	s_wait_alu 0xfffe
	v_cndmask_b32_e32 v14, v4, v5, vcc_lo
	s_cselect_b32 vcc_lo, -1, 0
	s_cmp_eq_u32 s3, 3
	s_wait_alu 0xfffe
	s_delay_alu instid0(VALU_DEP_1)
	v_cndmask_b32_e32 v14, v14, v6, vcc_lo
	s_cselect_b32 vcc_lo, -1, 0
	s_add_co_i32 s0, s10, 2
	s_mov_b64 s[10:11], s[8:9]
	s_wait_alu 0xfffe
	s_and_b32 s0, s0, 3
	v_cndmask_b32_e32 v14, v14, v7, vcc_lo
	s_wait_alu 0xfffe
	s_cmp_eq_u32 s0, 1
	s_cselect_b32 vcc_lo, -1, 0
	s_cmp_eq_u32 s0, 2
	s_wait_alu 0xfffe
	v_cndmask_b32_e32 v15, v4, v5, vcc_lo
	s_cselect_b32 vcc_lo, -1, 0
	s_cmp_eq_u32 s0, 3
	v_fma_f32 v14, v0, v14, 0
	s_wait_alu 0xfffe
	v_cndmask_b32_e32 v15, v15, v6, vcc_lo
	s_cselect_b32 vcc_lo, -1, 0
	s_xor_b32 s1, s3, 2
	s_wait_alu 0xfffe
	s_cmp_eq_u32 s1, 1
	s_cselect_b32 s0, -1, 0
	s_cmp_eq_u32 s1, 2
	s_wait_alu 0xfffe
	v_cndmask_b32_e64 v16, v4, v5, s0
	v_cndmask_b32_e32 v15, v15, v7, vcc_lo
	s_cselect_b32 vcc_lo, -1, 0
	s_cmp_eq_u32 s1, 3
	s_wait_alu 0xfffe
	v_cndmask_b32_e32 v16, v16, v6, vcc_lo
	s_cselect_b32 vcc_lo, -1, 0
	v_fmac_f32_e32 v14, v1, v15
	s_cmp_eq_u64 s[6:7], s[8:9]
	s_wait_alu 0xfffe
	v_cndmask_b32_e32 v15, v16, v7, vcc_lo
	s_delay_alu instid0(VALU_DEP_1) | instskip(NEXT) | instid1(VALU_DEP_1)
	v_fmac_f32_e32 v14, v2, v15
	v_fmac_f32_e32 v14, v3, v13
	s_delay_alu instid0(VALU_DEP_1)
	v_add_f32_e32 v13, v12, v14
	global_store_b32 v[10:11], v13, off
	v_add_co_u32 v10, vcc_lo, v10, s4
	s_wait_alu 0xfffd
	v_add_co_ci_u32_e64 v11, null, s5, v11, vcc_lo
	s_cbranch_scc0 .LBB12_5
.LBB12_6:
	s_endpgm
	.section	.rodata,"a",@progbits
	.p2align	6, 0x0
	.amdhsa_kernel _ZL12ssm_conv_f32ILb0ELm128ELm4EEvPKfS1_S1_iiiiPfiiil
		.amdhsa_group_segment_fixed_size 0
		.amdhsa_private_segment_fixed_size 0
		.amdhsa_kernarg_size 72
		.amdhsa_user_sgpr_count 2
		.amdhsa_user_sgpr_dispatch_ptr 0
		.amdhsa_user_sgpr_queue_ptr 0
		.amdhsa_user_sgpr_kernarg_segment_ptr 1
		.amdhsa_user_sgpr_dispatch_id 0
		.amdhsa_user_sgpr_private_segment_size 0
		.amdhsa_wavefront_size32 1
		.amdhsa_uses_dynamic_stack 0
		.amdhsa_enable_private_segment 0
		.amdhsa_system_sgpr_workgroup_id_x 1
		.amdhsa_system_sgpr_workgroup_id_y 1
		.amdhsa_system_sgpr_workgroup_id_z 0
		.amdhsa_system_sgpr_workgroup_info 0
		.amdhsa_system_vgpr_workitem_id 0
		.amdhsa_next_free_vgpr 17
		.amdhsa_next_free_sgpr 16
		.amdhsa_reserve_vcc 1
		.amdhsa_float_round_mode_32 0
		.amdhsa_float_round_mode_16_64 0
		.amdhsa_float_denorm_mode_32 3
		.amdhsa_float_denorm_mode_16_64 3
		.amdhsa_fp16_overflow 0
		.amdhsa_workgroup_processor_mode 1
		.amdhsa_memory_ordered 1
		.amdhsa_forward_progress 1
		.amdhsa_inst_pref_size 7
		.amdhsa_round_robin_scheduling 0
		.amdhsa_exception_fp_ieee_invalid_op 0
		.amdhsa_exception_fp_denorm_src 0
		.amdhsa_exception_fp_ieee_div_zero 0
		.amdhsa_exception_fp_ieee_overflow 0
		.amdhsa_exception_fp_ieee_underflow 0
		.amdhsa_exception_fp_ieee_inexact 0
		.amdhsa_exception_int_div_zero 0
	.end_amdhsa_kernel
	.section	.text._ZL12ssm_conv_f32ILb0ELm128ELm4EEvPKfS1_S1_iiiiPfiiil,"axG",@progbits,_ZL12ssm_conv_f32ILb0ELm128ELm4EEvPKfS1_S1_iiiiPfiiil,comdat
.Lfunc_end12:
	.size	_ZL12ssm_conv_f32ILb0ELm128ELm4EEvPKfS1_S1_iiiiPfiiil, .Lfunc_end12-_ZL12ssm_conv_f32ILb0ELm128ELm4EEvPKfS1_S1_iiiiPfiiil
                                        ; -- End function
	.set _ZL12ssm_conv_f32ILb0ELm128ELm4EEvPKfS1_S1_iiiiPfiiil.num_vgpr, 17
	.set _ZL12ssm_conv_f32ILb0ELm128ELm4EEvPKfS1_S1_iiiiPfiiil.num_agpr, 0
	.set _ZL12ssm_conv_f32ILb0ELm128ELm4EEvPKfS1_S1_iiiiPfiiil.numbered_sgpr, 16
	.set _ZL12ssm_conv_f32ILb0ELm128ELm4EEvPKfS1_S1_iiiiPfiiil.num_named_barrier, 0
	.set _ZL12ssm_conv_f32ILb0ELm128ELm4EEvPKfS1_S1_iiiiPfiiil.private_seg_size, 0
	.set _ZL12ssm_conv_f32ILb0ELm128ELm4EEvPKfS1_S1_iiiiPfiiil.uses_vcc, 1
	.set _ZL12ssm_conv_f32ILb0ELm128ELm4EEvPKfS1_S1_iiiiPfiiil.uses_flat_scratch, 0
	.set _ZL12ssm_conv_f32ILb0ELm128ELm4EEvPKfS1_S1_iiiiPfiiil.has_dyn_sized_stack, 0
	.set _ZL12ssm_conv_f32ILb0ELm128ELm4EEvPKfS1_S1_iiiiPfiiil.has_recursion, 0
	.set _ZL12ssm_conv_f32ILb0ELm128ELm4EEvPKfS1_S1_iiiiPfiiil.has_indirect_call, 0
	.section	.AMDGPU.csdata,"",@progbits
; Kernel info:
; codeLenInByte = 876
; TotalNumSgprs: 18
; NumVgprs: 17
; ScratchSize: 0
; MemoryBound: 0
; FloatMode: 240
; IeeeMode: 1
; LDSByteSize: 0 bytes/workgroup (compile time only)
; SGPRBlocks: 0
; VGPRBlocks: 2
; NumSGPRsForWavesPerEU: 18
; NumVGPRsForWavesPerEU: 17
; Occupancy: 16
; WaveLimiterHint : 0
; COMPUTE_PGM_RSRC2:SCRATCH_EN: 0
; COMPUTE_PGM_RSRC2:USER_SGPR: 2
; COMPUTE_PGM_RSRC2:TRAP_HANDLER: 0
; COMPUTE_PGM_RSRC2:TGID_X_EN: 1
; COMPUTE_PGM_RSRC2:TGID_Y_EN: 1
; COMPUTE_PGM_RSRC2:TGID_Z_EN: 0
; COMPUTE_PGM_RSRC2:TIDIG_COMP_CNT: 0
	.section	.text._ZL23ssm_conv_long_token_f32ILb0ELm128ELm4ELl32EEvPKfS1_S1_iiiiPfiiil,"axG",@progbits,_ZL23ssm_conv_long_token_f32ILb0ELm128ELm4ELl32EEvPKfS1_S1_iiiiPfiiil,comdat
	.globl	_ZL23ssm_conv_long_token_f32ILb0ELm128ELm4ELl32EEvPKfS1_S1_iiiiPfiiil ; -- Begin function _ZL23ssm_conv_long_token_f32ILb0ELm128ELm4ELl32EEvPKfS1_S1_iiiiPfiiil
	.p2align	8
	.type	_ZL23ssm_conv_long_token_f32ILb0ELm128ELm4ELl32EEvPKfS1_S1_iiiiPfiiil,@function
_ZL23ssm_conv_long_token_f32ILb0ELm128ELm4ELl32EEvPKfS1_S1_iiiiPfiiil: ; @_ZL23ssm_conv_long_token_f32ILb0ELm128ELm4ELl32EEvPKfS1_S1_iiiiPfiiil
; %bb.0:
	v_mul_u32_u24_e32 v1, 0x751, v0
	s_clause 0x1
	s_load_b128 s[4:7], s[0:1], 0x18
	s_load_b64 s[8:9], s[0:1], 0x0
	s_lshr_b32 s10, ttmp7, 11
	s_and_b32 s2, ttmp7, 0xffff
	v_lshrrev_b32_e32 v13, 16, v1
	s_and_b32 s12, s10, 0x1fffe0
	s_mov_b32 s3, 0
	s_lshl_b32 s2, s2, 7
	s_mov_b32 s13, s3
	v_mul_lo_u16 v1, v13, 35
	s_delay_alu instid0(VALU_DEP_1) | instskip(NEXT) | instid1(VALU_DEP_1)
	v_sub_nc_u16 v14, v0, v1
	v_or_b32_e32 v1, 0x80, v14
	s_wait_kmcnt 0x0
	s_mul_i32 s10, s6, ttmp9
	s_ashr_i32 s6, s5, 2
	v_and_b32_e32 v14, 0xffff, v14
	s_ashr_i32 s15, s5, 31
	v_mul_lo_u16 v2, 0xeb, v1
	s_mov_b32 s14, s5
	s_ashr_i32 s11, s10, 31
	s_ashr_i32 s17, s4, 31
	s_mov_b32 s16, s4
	v_lshrrev_b16 v15, 13, v2
	s_mul_u64 s[4:5], s[2:3], s[14:15]
	s_add_nc_u64 s[8:9], s[8:9], s[10:11]
	s_mul_u64 s[10:11], s[12:13], s[16:17]
	s_add_nc_u64 s[4:5], s[8:9], s[4:5]
	v_mul_lo_u16 v2, v15, 35
	v_and_b32_e32 v18, 0xffff, v15
	s_add_nc_u64 s[4:5], s[4:5], s[10:11]
	s_mov_b32 s8, exec_lo
	s_delay_alu instid0(VALU_DEP_2) | instskip(NEXT) | instid1(VALU_DEP_2)
	v_sub_nc_u16 v1, v1, v2
	v_add_nc_u32_e32 v43, v13, v18
	s_delay_alu instid0(VALU_DEP_2) | instskip(NEXT) | instid1(VALU_DEP_1)
	v_and_b32_e32 v1, 0xff, v1
	v_or_b32_e32 v2, 0x80, v1
	s_delay_alu instid0(VALU_DEP_1) | instskip(NEXT) | instid1(VALU_DEP_1)
	v_mul_lo_u16 v3, 0xeb, v2
	v_lshrrev_b16 v19, 13, v3
	s_delay_alu instid0(VALU_DEP_1) | instskip(NEXT) | instid1(VALU_DEP_1)
	v_mul_lo_u16 v3, v19, 35
	v_sub_nc_u16 v2, v2, v3
	s_delay_alu instid0(VALU_DEP_1) | instskip(NEXT) | instid1(VALU_DEP_1)
	v_and_b32_e32 v2, 0xff, v2
	v_or_b32_e32 v3, 0x80, v2
	s_delay_alu instid0(VALU_DEP_1) | instskip(NEXT) | instid1(VALU_DEP_1)
	v_mul_lo_u16 v4, 0xeb, v3
	v_lshrrev_b16 v22, 13, v4
	s_delay_alu instid0(VALU_DEP_1) | instskip(NEXT) | instid1(VALU_DEP_1)
	v_mul_lo_u16 v4, v22, 35
	v_sub_nc_u16 v3, v3, v4
	s_delay_alu instid0(VALU_DEP_1) | instskip(NEXT) | instid1(VALU_DEP_1)
	;; [unrolled: 9-line block ×6, first 2 shown]
	v_and_b32_e32 v7, 0xff, v7
	v_or_b32_e32 v8, 0x80, v7
	s_delay_alu instid0(VALU_DEP_1) | instskip(NEXT) | instid1(VALU_DEP_1)
	v_mul_lo_u16 v9, 0xeb, v8
	v_lshrrev_b16 v33, 13, v9
	s_delay_alu instid0(VALU_DEP_1) | instskip(SKIP_1) | instid1(VALU_DEP_2)
	v_mul_lo_u16 v9, v33, 35
	v_and_b32_e32 v36, 0xffff, v33
	v_sub_nc_u16 v8, v8, v9
	s_delay_alu instid0(VALU_DEP_1) | instskip(NEXT) | instid1(VALU_DEP_1)
	v_and_b32_e32 v8, 0xff, v8
	v_or_b32_e32 v9, 0x80, v8
	s_delay_alu instid0(VALU_DEP_1) | instskip(NEXT) | instid1(VALU_DEP_1)
	v_mul_lo_u16 v10, 0xeb, v9
	v_lshrrev_b16 v34, 13, v10
	s_delay_alu instid0(VALU_DEP_1) | instskip(SKIP_1) | instid1(VALU_DEP_2)
	v_mul_lo_u16 v10, v34, 35
	v_and_b32_e32 v34, 0xffff, v34
	v_sub_nc_u16 v9, v9, v10
	s_delay_alu instid0(VALU_DEP_1) | instskip(NEXT) | instid1(VALU_DEP_1)
	v_and_b32_e32 v9, 0xff, v9
	v_or_b32_e32 v10, 0x80, v9
	s_delay_alu instid0(VALU_DEP_1) | instskip(NEXT) | instid1(VALU_DEP_1)
	v_mul_lo_u16 v11, 0xeb, v10
	v_lshrrev_b16 v38, 13, v11
	s_delay_alu instid0(VALU_DEP_1) | instskip(NEXT) | instid1(VALU_DEP_1)
	v_mul_lo_u16 v11, v38, 35
	v_sub_nc_u16 v10, v10, v11
	s_delay_alu instid0(VALU_DEP_1) | instskip(NEXT) | instid1(VALU_DEP_1)
	v_and_b32_e32 v10, 0xff, v10
	v_or_b32_e32 v11, 0x80, v10
	s_delay_alu instid0(VALU_DEP_1) | instskip(NEXT) | instid1(VALU_DEP_1)
	v_mul_lo_u16 v12, 0xeb, v11
	v_lshrrev_b16 v40, 13, v12
	s_delay_alu instid0(VALU_DEP_1) | instskip(NEXT) | instid1(VALU_DEP_1)
	v_mul_lo_u16 v12, v40, 35
	;; [unrolled: 9-line block ×3, first 2 shown]
	v_sub_nc_u16 v12, v12, v16
	s_delay_alu instid0(VALU_DEP_1) | instskip(NEXT) | instid1(VALU_DEP_1)
	v_and_b32_e32 v12, 0xff, v12
	v_or_b32_e32 v17, 0x80, v12
	s_delay_alu instid0(VALU_DEP_1) | instskip(NEXT) | instid1(VALU_DEP_1)
	v_mul_lo_u16 v16, 0xeb, v17
	v_lshrrev_b16 v42, 13, v16
	v_mad_co_u64_u32 v[15:16], null, s6, v13, v[14:15]
	v_lshlrev_b32_e32 v14, 2, v14
	s_delay_alu instid0(VALU_DEP_3) | instskip(NEXT) | instid1(VALU_DEP_3)
	v_mul_lo_u16 v20, v42, 35
	v_ashrrev_i32_e32 v16, 31, v15
	s_delay_alu instid0(VALU_DEP_2) | instskip(SKIP_2) | instid1(VALU_DEP_4)
	v_sub_nc_u16 v20, v17, v20
	v_mad_co_u64_u32 v[17:18], null, v43, s6, v[1:2]
	v_and_b32_e32 v18, 0xffff, v19
	v_lshlrev_b64_e32 v[15:16], 2, v[15:16]
	s_delay_alu instid0(VALU_DEP_4) | instskip(SKIP_1) | instid1(VALU_DEP_4)
	v_and_b32_e32 v19, 0xff, v20
	v_lshlrev_b32_e32 v1, 2, v1
	v_add_nc_u32_e32 v44, v43, v18
	v_ashrrev_i32_e32 v18, 31, v17
	s_delay_alu instid0(VALU_DEP_4) | instskip(SKIP_1) | instid1(VALU_DEP_4)
	v_or_b32_e32 v25, 0x80, v19
	v_add_co_u32 v15, vcc_lo, s4, v15
	v_mad_co_u64_u32 v[20:21], null, v44, s6, v[2:3]
	v_and_b32_e32 v21, 0xffff, v22
	s_delay_alu instid0(VALU_DEP_4) | instskip(SKIP_2) | instid1(VALU_DEP_4)
	v_mul_lo_u16 v22, 0xeb, v25
	v_lshlrev_b64_e32 v[17:18], 2, v[17:18]
	v_add_co_ci_u32_e64 v16, null, s5, v16, vcc_lo
	v_add_nc_u32_e32 v45, v44, v21
	s_delay_alu instid0(VALU_DEP_4) | instskip(SKIP_2) | instid1(VALU_DEP_4)
	v_lshrrev_b16 v46, 13, v22
	v_ashrrev_i32_e32 v21, 31, v20
	v_add_co_u32 v17, vcc_lo, s4, v17
	v_mad_co_u64_u32 v[22:23], null, v45, s6, v[3:4]
	v_and_b32_e32 v23, 0xffff, v24
	v_mul_lo_u16 v24, v46, 35
	v_lshlrev_b64_e32 v[20:21], 2, v[20:21]
	s_wait_alu 0xfffd
	v_add_co_ci_u32_e64 v18, null, s5, v18, vcc_lo
	v_add_nc_u32_e32 v47, v45, v23
	v_sub_nc_u16 v27, v25, v24
	v_ashrrev_i32_e32 v23, 31, v22
	v_add_co_u32 v20, vcc_lo, s4, v20
	s_delay_alu instid0(VALU_DEP_4)
	v_mad_co_u64_u32 v[24:25], null, v47, s6, v[4:5]
	v_and_b32_e32 v25, 0xffff, v26
	v_and_b32_e32 v26, 0xff, v27
	v_lshlrev_b64_e32 v[22:23], 2, v[22:23]
	s_wait_alu 0xfffd
	v_add_co_ci_u32_e64 v21, null, s5, v21, vcc_lo
	v_add_nc_u32_e32 v48, v47, v25
	v_or_b32_e32 v32, 0x80, v26
	v_ashrrev_i32_e32 v25, 31, v24
	v_add_co_u32 v22, vcc_lo, s4, v22
	s_delay_alu instid0(VALU_DEP_4)
	v_mad_co_u64_u32 v[27:28], null, v48, s6, v[5:6]
	v_and_b32_e32 v28, 0xffff, v29
	v_mul_lo_u16 v29, 0xeb, v32
	v_lshlrev_b64_e32 v[24:25], 2, v[24:25]
	s_wait_alu 0xfffd
	v_add_co_ci_u32_e64 v23, null, s5, v23, vcc_lo
	v_add_nc_u32_e32 v49, v48, v28
	v_lshrrev_b16 v50, 13, v29
	v_ashrrev_i32_e32 v28, 31, v27
	v_add_co_u32 v24, vcc_lo, s4, v24
	s_delay_alu instid0(VALU_DEP_4)
	v_mad_co_u64_u32 v[29:30], null, v49, s6, v[6:7]
	v_and_b32_e32 v30, 0xffff, v31
	v_mul_lo_u16 v31, v50, 35
	v_lshlrev_b64_e32 v[27:28], 2, v[27:28]
	s_wait_alu 0xfffd
	v_add_co_ci_u32_e64 v25, null, s5, v25, vcc_lo
	v_add_nc_u32_e32 v51, v49, v30
	v_sub_nc_u16 v35, v32, v31
	v_ashrrev_i32_e32 v30, 31, v29
	v_add_co_u32 v27, vcc_lo, s4, v27
	s_delay_alu instid0(VALU_DEP_4) | instskip(NEXT) | instid1(VALU_DEP_4)
	v_add_nc_u32_e32 v52, v51, v36
	v_and_b32_e32 v33, 0xff, v35
	v_mad_co_u64_u32 v[31:32], null, v51, s6, v[7:8]
	v_lshlrev_b64_e32 v[29:30], 2, v[29:30]
	s_delay_alu instid0(VALU_DEP_4) | instskip(NEXT) | instid1(VALU_DEP_4)
	v_add_nc_u32_e32 v53, v52, v34
	v_or_b32_e32 v39, 0x80, v33
	s_wait_alu 0xfffd
	v_add_co_ci_u32_e64 v28, null, s5, v28, vcc_lo
	v_lshlrev_b32_e32 v2, 2, v2
	v_mad_co_u64_u32 v[36:37], null, v53, s6, v[9:10]
	v_mul_lo_u16 v35, 0xeb, v39
	v_ashrrev_i32_e32 v32, 31, v31
	v_add_co_u32 v29, vcc_lo, s4, v29
	s_wait_alu 0xfffd
	v_add_co_ci_u32_e64 v30, null, s5, v30, vcc_lo
	v_lshrrev_b16 v54, 13, v35
	v_mad_co_u64_u32 v[34:35], null, v52, s6, v[8:9]
	v_and_b32_e32 v35, 0xffff, v38
	v_lshlrev_b64_e32 v[31:32], 2, v[31:32]
	s_delay_alu instid0(VALU_DEP_4)
	v_mul_lo_u16 v37, v54, 35
	v_lshlrev_b32_e32 v4, 2, v4
	v_lshlrev_b32_e32 v5, 2, v5
	v_add_nc_u32_e32 v55, v53, v35
	v_ashrrev_i32_e32 v35, 31, v34
	v_sub_nc_u16 v56, v39, v37
	v_add_co_u32 v31, vcc_lo, s4, v31
	s_delay_alu instid0(VALU_DEP_4) | instskip(SKIP_1) | instid1(VALU_DEP_4)
	v_mad_co_u64_u32 v[38:39], null, v55, s6, v[10:11]
	v_and_b32_e32 v39, 0xffff, v40
	v_and_b32_e32 v40, 0xff, v56
	s_wait_alu 0xfffd
	v_add_co_ci_u32_e64 v32, null, s5, v32, vcc_lo
	s_clause 0x7
	global_load_b32 v56, v[15:16], off
	global_load_b32 v57, v[17:18], off
	;; [unrolled: 1-line block ×8, first 2 shown]
	v_add_nc_u32_e32 v63, v55, v39
	v_or_b32_e32 v24, 0x80, v40
	v_ashrrev_i32_e32 v37, 31, v36
	v_ashrrev_i32_e32 v39, 31, v38
	v_lshlrev_b64_e32 v[15:16], 2, v[34:35]
	v_mad_co_u64_u32 v[20:21], null, v63, s6, v[11:12]
	v_mul_lo_u16 v21, 0xeb, v24
	v_lshlrev_b64_e32 v[17:18], 2, v[36:37]
	v_lshlrev_b64_e32 v[22:23], 2, v[38:39]
	v_add_co_u32 v15, vcc_lo, s4, v15
	s_delay_alu instid0(VALU_DEP_4) | instskip(SKIP_4) | instid1(VALU_DEP_3)
	v_lshrrev_b16 v30, 13, v21
	v_ashrrev_i32_e32 v21, 31, v20
	s_wait_alu 0xfffd
	v_add_co_ci_u32_e64 v16, null, s5, v16, vcc_lo
	v_add_co_u32 v17, vcc_lo, s4, v17
	v_lshlrev_b64_e32 v[20:21], 2, v[20:21]
	s_wait_alu 0xfffd
	v_add_co_ci_u32_e64 v18, null, s5, v18, vcc_lo
	v_add_co_u32 v22, vcc_lo, s4, v22
	s_wait_alu 0xfffd
	v_add_co_ci_u32_e64 v23, null, s5, v23, vcc_lo
	v_add_co_u32 v20, vcc_lo, s4, v20
	s_wait_alu 0xfffd
	v_add_co_ci_u32_e64 v21, null, s5, v21, vcc_lo
	v_and_b32_e32 v25, 0xffff, v41
	v_and_b32_e32 v28, 0xffff, v42
	s_clause 0x3
	global_load_b32 v38, v[15:16], off
	global_load_b32 v39, v[17:18], off
	;; [unrolled: 1-line block ×4, first 2 shown]
	v_mul_lo_u16 v27, v30, 35
	v_lshlrev_b32_e32 v6, 2, v6
	v_add_nc_u32_e32 v36, v63, v25
	s_delay_alu instid0(VALU_DEP_3) | instskip(NEXT) | instid1(VALU_DEP_2)
	v_sub_nc_u16 v27, v24, v27
	v_mad_co_u64_u32 v[24:25], null, v36, s6, v[12:13]
	v_add_nc_u32_e32 v37, v36, v28
	s_delay_alu instid0(VALU_DEP_3) | instskip(SKIP_1) | instid1(VALU_DEP_3)
	v_and_b32_e32 v27, 0xff, v27
	v_mul_u32_u24_e32 v13, 0x8c, v13
	v_mad_co_u64_u32 v[28:29], null, v37, s6, v[19:20]
	s_delay_alu instid0(VALU_DEP_3)
	v_or_b32_e32 v31, 0x80, v27
	v_ashrrev_i32_e32 v25, 31, v24
	v_and_b32_e32 v29, 0xffff, v46
	v_add3_u32 v13, 0, v13, v14
	v_mul_u32_u24_e32 v14, 0x8c, v48
	v_mul_lo_u16 v34, 0xeb, v31
	v_lshlrev_b64_e32 v[15:16], 2, v[24:25]
	v_add_nc_u32_e32 v46, v37, v29
	v_ashrrev_i32_e32 v29, 31, v28
	s_delay_alu instid0(VALU_DEP_4) | instskip(NEXT) | instid1(VALU_DEP_3)
	v_lshrrev_b16 v25, 13, v34
	v_mad_co_u64_u32 v[17:18], null, v46, s6, v[26:27]
	v_and_b32_e32 v18, 0xffff, v50
	s_delay_alu instid0(VALU_DEP_3)
	v_mul_lo_u16 v22, v25, 35
	v_lshlrev_b64_e32 v[20:21], 2, v[28:29]
	v_and_b32_e32 v28, 0xffff, v54
	v_and_b32_e32 v25, 0xffff, v25
	v_add_nc_u32_e32 v50, v46, v18
	v_sub_nc_u16 v24, v31, v22
	v_ashrrev_i32_e32 v18, 31, v17
	v_add_co_u32 v15, vcc_lo, s4, v15
	s_delay_alu instid0(VALU_DEP_4) | instskip(NEXT) | instid1(VALU_DEP_4)
	v_mad_co_u64_u32 v[22:23], null, v50, s6, v[33:34]
	v_and_b32_e32 v24, 0xff, v24
	v_add_nc_u32_e32 v54, v50, v28
	v_and_b32_e32 v28, 0xffff, v30
	v_lshlrev_b64_e32 v[17:18], 2, v[17:18]
	s_wait_alu 0xfffd
	v_add_co_ci_u32_e64 v16, null, s5, v16, vcc_lo
	v_or_b32_e32 v34, 0x80, v24
	v_add_nc_u32_e32 v64, v54, v28
	v_ashrrev_i32_e32 v23, 31, v22
	v_add_co_u32 v20, vcc_lo, s4, v20
	s_delay_alu instid0(VALU_DEP_4)
	v_mul_lo_u16 v29, 0xeb, v34
	s_wait_alu 0xfffd
	v_add_co_ci_u32_e64 v21, null, s5, v21, vcc_lo
	v_lshlrev_b64_e32 v[22:23], 2, v[22:23]
	v_add_co_u32 v17, vcc_lo, s4, v17
	v_lshrrev_b16 v35, 13, v29
	v_add_nc_u32_e32 v65, v64, v25
	s_wait_alu 0xfffd
	v_add_co_ci_u32_e64 v18, null, s5, v18, vcc_lo
	v_add_co_u32 v22, vcc_lo, s4, v22
	v_and_b32_e32 v25, 0xffff, v35
	s_wait_alu 0xfffd
	v_add_co_ci_u32_e64 v23, null, s5, v23, vcc_lo
	s_delay_alu instid0(VALU_DEP_2) | instskip(SKIP_2) | instid1(VALU_DEP_1)
	v_add_nc_u32_e32 v67, v65, v25
	s_wait_loadcnt 0x1
	v_mad_co_u64_u32 v[28:29], null, v54, s6, v[40:41]
	v_mad_co_u64_u32 v[30:31], null, v64, s6, v[27:28]
	v_mul_lo_u16 v31, v35, 35
	v_ashrrev_i32_e32 v29, 31, v28
	s_delay_alu instid0(VALU_DEP_2) | instskip(SKIP_2) | instid1(VALU_DEP_3)
	v_sub_nc_u16 v66, v34, v31
	v_mad_co_u64_u32 v[34:35], null, v65, s6, v[24:25]
	v_ashrrev_i32_e32 v31, 31, v30
	v_and_b32_e32 v25, 0xff, v66
	s_clause 0x3
	global_load_b32 v66, v[15:16], off
	global_load_b32 v68, v[20:21], off
	;; [unrolled: 1-line block ×4, first 2 shown]
	v_lshlrev_b64_e32 v[15:16], 2, v[28:29]
	v_lshlrev_b64_e32 v[20:21], 2, v[30:31]
	v_ashrrev_i32_e32 v35, 31, v34
	v_mad_co_u64_u32 v[17:18], null, v67, s6, v[25:26]
	s_delay_alu instid0(VALU_DEP_4) | instskip(NEXT) | instid1(VALU_DEP_3)
	v_add_co_u32 v15, vcc_lo, s4, v15
	v_lshlrev_b64_e32 v[22:23], 2, v[34:35]
	s_wait_alu 0xfffd
	v_add_co_ci_u32_e64 v16, null, s5, v16, vcc_lo
	s_delay_alu instid0(VALU_DEP_4) | instskip(SKIP_3) | instid1(VALU_DEP_3)
	v_ashrrev_i32_e32 v18, 31, v17
	v_add_co_u32 v20, vcc_lo, s4, v20
	s_wait_alu 0xfffd
	v_add_co_ci_u32_e64 v21, null, s5, v21, vcc_lo
	v_lshlrev_b64_e32 v[17:18], 2, v[17:18]
	v_add_co_u32 v22, vcc_lo, s4, v22
	s_wait_alu 0xfffd
	v_add_co_ci_u32_e64 v23, null, s5, v23, vcc_lo
	s_delay_alu instid0(VALU_DEP_3)
	v_add_co_u32 v17, vcc_lo, s4, v17
	s_wait_alu 0xfffd
	v_add_co_ci_u32_e64 v18, null, s5, v18, vcc_lo
	s_clause 0x3
	global_load_b32 v15, v[15:16], off
	global_load_b32 v16, v[20:21], off
	;; [unrolled: 1-line block ×4, first 2 shown]
	v_mul_u32_u24_e32 v18, 0x8c, v43
	v_mul_u32_u24_e32 v21, 0x8c, v44
	s_delay_alu instid0(VALU_DEP_2) | instskip(NEXT) | instid1(VALU_DEP_2)
	v_add3_u32 v1, 0, v18, v1
	v_add3_u32 v2, 0, v21, v2
	ds_store_b32 v13, v56
	ds_store_b32 v1, v57
	;; [unrolled: 1-line block ×3, first 2 shown]
	v_mul_u32_u24_e32 v1, 0x8c, v45
	v_lshlrev_b32_e32 v2, 2, v3
	v_mul_u32_u24_e32 v3, 0x8c, v47
	v_mul_lo_u32 v13, 0x8c, v49
	s_delay_alu instid0(VALU_DEP_3) | instskip(NEXT) | instid1(VALU_DEP_3)
	v_add3_u32 v1, 0, v1, v2
	v_add3_u32 v2, 0, v3, v4
	v_mul_lo_u32 v3, 0x8c, v51
	v_add3_u32 v4, 0, v14, v5
	v_add3_u32 v5, 0, v13, v6
	v_lshlrev_b32_e32 v6, 2, v7
	ds_store_b32 v1, v59
	ds_store_b32 v2, v60
	ds_store_b32 v4, v61
	ds_store_b32 v5, v62
	v_mul_lo_u32 v2, 0x8c, v52
	v_mul_lo_u32 v4, 0x8c, v53
	v_lshlrev_b32_e32 v5, 2, v9
	v_add3_u32 v1, 0, v3, v6
	v_lshlrev_b32_e32 v3, 2, v8
	v_mul_lo_u32 v6, 0x8c, v55
	v_mul_lo_u32 v7, 0x8c, v63
	v_lshlrev_b32_e32 v8, 2, v11
	ds_store_b32 v1, v32
	v_lshlrev_b32_e32 v1, 2, v10
	v_add3_u32 v2, 0, v2, v3
	v_add3_u32 v3, 0, v4, v5
	v_mul_lo_u32 v4, 0x8c, v36
	v_lshlrev_b32_e32 v9, 2, v24
	v_add3_u32 v1, 0, v6, v1
	v_lshlrev_b32_e32 v6, 2, v12
	v_add3_u32 v5, 0, v7, v8
	ds_store_b32 v2, v38
	ds_store_b32 v3, v39
	;; [unrolled: 1-line block ×3, first 2 shown]
	s_wait_loadcnt 0x8
	ds_store_b32 v5, v42
	v_mul_lo_u32 v2, 0x8c, v37
	v_add3_u32 v1, 0, v4, v6
	v_mul_lo_u32 v5, 0x8c, v50
	v_mul_lo_u32 v3, 0x8c, v46
	v_lshlrev_b32_e32 v4, 2, v19
	v_or_b32_e32 v7, 0x80, v25
	v_lshlrev_b32_e32 v6, 2, v26
	v_lshlrev_b32_e32 v8, 2, v27
	;; [unrolled: 1-line block ×3, first 2 shown]
	v_add3_u32 v2, 0, v2, v4
	v_mul_lo_u32 v4, 0x8c, v54
	v_add3_u32 v3, 0, v3, v6
	v_lshlrev_b32_e32 v6, 2, v40
	s_wait_loadcnt 0x7
	ds_store_b32 v1, v66
	v_lshlrev_b32_e32 v1, 2, v33
	s_delay_alu instid0(VALU_DEP_1)
	v_add3_u32 v1, 0, v5, v1
	v_mul_lo_u16 v5, 0xeb, v7
	s_wait_loadcnt 0x6
	ds_store_b32 v2, v68
	s_wait_loadcnt 0x5
	ds_store_b32 v3, v69
	;; [unrolled: 2-line block ×3, first 2 shown]
	v_add3_u32 v3, 0, v4, v6
	v_mul_lo_u32 v4, 0x8c, v64
	v_lshrrev_b16 v1, 13, v5
	v_mul_lo_u32 v5, 0x8c, v65
	v_mul_lo_u32 v6, 0x8c, v67
	s_delay_alu instid0(VALU_DEP_3) | instskip(SKIP_3) | instid1(VALU_DEP_4)
	v_mul_lo_u16 v2, v1, 35
	v_and_b32_e32 v1, 0xffff, v1
	v_add3_u32 v4, 0, v4, v8
	v_add3_u32 v5, 0, v5, v9
	v_sub_nc_u16 v7, v7, v2
	s_delay_alu instid0(VALU_DEP_4)
	v_add_nc_u32_e32 v2, v67, v1
	v_add3_u32 v6, 0, v6, v10
	s_wait_loadcnt 0x3
	ds_store_b32 v3, v15
	s_wait_loadcnt 0x2
	ds_store_b32 v4, v16
	;; [unrolled: 2-line block ×4, first 2 shown]
	v_and_b32_e32 v1, 0xff, v7
	v_cmpx_gt_u32_e32 0x80, v2
	s_cbranch_execz .LBB13_2
; %bb.1:
	s_delay_alu instid0(VALU_DEP_2) | instskip(SKIP_1) | instid1(VALU_DEP_2)
	v_mad_co_u64_u32 v[3:4], null, v2, s6, v[1:2]
	v_lshlrev_b32_e32 v5, 2, v1
	v_ashrrev_i32_e32 v4, 31, v3
	s_delay_alu instid0(VALU_DEP_1) | instskip(NEXT) | instid1(VALU_DEP_1)
	v_lshlrev_b64_e32 v[3:4], 2, v[3:4]
	v_add_co_u32 v3, vcc_lo, s4, v3
	s_wait_alu 0xfffd
	s_delay_alu instid0(VALU_DEP_2) | instskip(SKIP_2) | instid1(VALU_DEP_1)
	v_add_co_ci_u32_e64 v4, null, s5, v4, vcc_lo
	global_load_b32 v3, v[3:4], off
	v_mul_lo_u32 v4, 0x8c, v2
	v_add3_u32 v4, 0, v4, v5
	s_wait_loadcnt 0x0
	ds_store_b32 v4, v3
.LBB13_2:
	s_or_b32 exec_lo, exec_lo, s8
	s_delay_alu instid0(VALU_DEP_2) | instskip(SKIP_1) | instid1(VALU_DEP_1)
	v_or_b32_e32 v1, 0x80, v1
	s_mov_b32 s8, exec_lo
	v_mul_lo_u16 v3, 0xeb, v1
	s_delay_alu instid0(VALU_DEP_1) | instskip(NEXT) | instid1(VALU_DEP_1)
	v_lshrrev_b16 v3, 13, v3
	v_mul_lo_u16 v4, v3, 35
	v_and_b32_e32 v3, 0xffff, v3
	s_delay_alu instid0(VALU_DEP_2) | instskip(NEXT) | instid1(VALU_DEP_2)
	v_sub_nc_u16 v1, v1, v4
	v_add_nc_u32_e32 v2, v2, v3
	s_delay_alu instid0(VALU_DEP_2) | instskip(NEXT) | instid1(VALU_DEP_2)
	v_and_b32_e32 v1, 0xff, v1
	v_cmpx_gt_u32_e32 0x80, v2
	s_cbranch_execz .LBB13_4
; %bb.3:
	s_delay_alu instid0(VALU_DEP_2) | instskip(SKIP_1) | instid1(VALU_DEP_2)
	v_mad_co_u64_u32 v[3:4], null, v2, s6, v[1:2]
	v_lshlrev_b32_e32 v5, 2, v1
	v_ashrrev_i32_e32 v4, 31, v3
	s_delay_alu instid0(VALU_DEP_1) | instskip(NEXT) | instid1(VALU_DEP_1)
	v_lshlrev_b64_e32 v[3:4], 2, v[3:4]
	v_add_co_u32 v3, vcc_lo, s4, v3
	s_wait_alu 0xfffd
	s_delay_alu instid0(VALU_DEP_2) | instskip(SKIP_2) | instid1(VALU_DEP_1)
	v_add_co_ci_u32_e64 v4, null, s5, v4, vcc_lo
	global_load_b32 v3, v[3:4], off
	v_mul_lo_u32 v4, 0x8c, v2
	v_add3_u32 v4, 0, v4, v5
	s_wait_loadcnt 0x0
	ds_store_b32 v4, v3
.LBB13_4:
	s_or_b32 exec_lo, exec_lo, s8
	s_delay_alu instid0(VALU_DEP_2) | instskip(SKIP_1) | instid1(VALU_DEP_1)
	v_or_b32_e32 v1, 0x80, v1
	s_mov_b32 s8, exec_lo
	v_mul_lo_u16 v3, 0xeb, v1
	s_delay_alu instid0(VALU_DEP_1) | instskip(NEXT) | instid1(VALU_DEP_1)
	v_lshrrev_b16 v3, 13, v3
	v_mul_lo_u16 v4, v3, 35
	v_and_b32_e32 v3, 0xffff, v3
	s_delay_alu instid0(VALU_DEP_2) | instskip(NEXT) | instid1(VALU_DEP_2)
	v_sub_nc_u16 v1, v1, v4
	v_add_nc_u32_e32 v2, v2, v3
	s_delay_alu instid0(VALU_DEP_2) | instskip(NEXT) | instid1(VALU_DEP_2)
	;; [unrolled: 33-line block ×7, first 2 shown]
	v_and_b32_e32 v1, 0xff, v1
	v_cmpx_gt_u32_e32 0x80, v2
	s_cbranch_execz .LBB13_16
; %bb.15:
	s_delay_alu instid0(VALU_DEP_2) | instskip(SKIP_1) | instid1(VALU_DEP_2)
	v_mad_co_u64_u32 v[3:4], null, v2, s6, v[1:2]
	v_lshlrev_b32_e32 v5, 2, v1
	v_ashrrev_i32_e32 v4, 31, v3
	s_delay_alu instid0(VALU_DEP_1) | instskip(NEXT) | instid1(VALU_DEP_1)
	v_lshlrev_b64_e32 v[3:4], 2, v[3:4]
	v_add_co_u32 v3, vcc_lo, s4, v3
	s_wait_alu 0xfffd
	s_delay_alu instid0(VALU_DEP_2) | instskip(SKIP_2) | instid1(VALU_DEP_1)
	v_add_co_ci_u32_e64 v4, null, s5, v4, vcc_lo
	global_load_b32 v3, v[3:4], off
	v_mul_lo_u32 v4, 0x8c, v2
	v_add3_u32 v4, 0, v4, v5
	s_wait_loadcnt 0x0
	ds_store_b32 v4, v3
.LBB13_16:
	s_or_b32 exec_lo, exec_lo, s8
	s_delay_alu instid0(SALU_CYCLE_1)
	s_mov_b32 s8, exec_lo
	v_cmpx_gt_u32_e32 0x380, v0
	s_cbranch_execz .LBB13_37
; %bb.17:
	v_or_b32_e32 v1, 0x80, v1
	s_mov_b32 s9, exec_lo
	s_delay_alu instid0(VALU_DEP_1) | instskip(NEXT) | instid1(VALU_DEP_1)
	v_mul_lo_u16 v3, 0xeb, v1
	v_lshrrev_b16 v3, 13, v3
	s_delay_alu instid0(VALU_DEP_1) | instskip(SKIP_1) | instid1(VALU_DEP_2)
	v_mul_lo_u16 v4, v3, 35
	v_and_b32_e32 v3, 0xffff, v3
	v_sub_nc_u16 v1, v1, v4
	s_delay_alu instid0(VALU_DEP_2) | instskip(NEXT) | instid1(VALU_DEP_2)
	v_add_nc_u32_e32 v2, v2, v3
	v_and_b32_e32 v1, 0xff, v1
	s_delay_alu instid0(VALU_DEP_2)
	v_cmpx_gt_u32_e32 0x80, v2
	s_cbranch_execz .LBB13_19
; %bb.18:
	s_delay_alu instid0(VALU_DEP_2) | instskip(SKIP_1) | instid1(VALU_DEP_2)
	v_mad_co_u64_u32 v[3:4], null, v2, s6, v[1:2]
	v_lshlrev_b32_e32 v5, 2, v1
	v_ashrrev_i32_e32 v4, 31, v3
	s_delay_alu instid0(VALU_DEP_1) | instskip(NEXT) | instid1(VALU_DEP_1)
	v_lshlrev_b64_e32 v[3:4], 2, v[3:4]
	v_add_co_u32 v3, vcc_lo, s4, v3
	s_wait_alu 0xfffd
	s_delay_alu instid0(VALU_DEP_2) | instskip(SKIP_2) | instid1(VALU_DEP_1)
	v_add_co_ci_u32_e64 v4, null, s5, v4, vcc_lo
	global_load_b32 v3, v[3:4], off
	v_mul_lo_u32 v4, 0x8c, v2
	v_add3_u32 v4, 0, v4, v5
	s_wait_loadcnt 0x0
	ds_store_b32 v4, v3
.LBB13_19:
	s_or_b32 exec_lo, exec_lo, s9
	v_cmp_gt_u32_e32 vcc_lo, 0x300, v0
	s_and_b32 exec_lo, exec_lo, vcc_lo
	s_cbranch_execz .LBB13_37
; %bb.20:
	v_or_b32_e32 v1, 0x80, v1
	s_mov_b32 s9, exec_lo
	s_delay_alu instid0(VALU_DEP_1) | instskip(NEXT) | instid1(VALU_DEP_1)
	v_mul_lo_u16 v3, 0xeb, v1
	v_lshrrev_b16 v3, 13, v3
	s_delay_alu instid0(VALU_DEP_1) | instskip(SKIP_1) | instid1(VALU_DEP_2)
	v_mul_lo_u16 v4, v3, 35
	v_and_b32_e32 v3, 0xffff, v3
	v_sub_nc_u16 v1, v1, v4
	s_delay_alu instid0(VALU_DEP_2) | instskip(NEXT) | instid1(VALU_DEP_2)
	v_add_nc_u32_e32 v2, v2, v3
	v_and_b32_e32 v1, 0xff, v1
	s_delay_alu instid0(VALU_DEP_2)
	v_cmpx_gt_u32_e32 0x80, v2
	s_cbranch_execz .LBB13_22
; %bb.21:
	s_delay_alu instid0(VALU_DEP_2) | instskip(SKIP_1) | instid1(VALU_DEP_2)
	v_mad_co_u64_u32 v[3:4], null, v2, s6, v[1:2]
	v_lshlrev_b32_e32 v5, 2, v1
	v_ashrrev_i32_e32 v4, 31, v3
	s_delay_alu instid0(VALU_DEP_1) | instskip(NEXT) | instid1(VALU_DEP_1)
	v_lshlrev_b64_e32 v[3:4], 2, v[3:4]
	v_add_co_u32 v3, vcc_lo, s4, v3
	s_wait_alu 0xfffd
	s_delay_alu instid0(VALU_DEP_2) | instskip(SKIP_2) | instid1(VALU_DEP_1)
	v_add_co_ci_u32_e64 v4, null, s5, v4, vcc_lo
	global_load_b32 v3, v[3:4], off
	v_mul_lo_u32 v4, 0x8c, v2
	v_add3_u32 v4, 0, v4, v5
	s_wait_loadcnt 0x0
	ds_store_b32 v4, v3
.LBB13_22:
	s_or_b32 exec_lo, exec_lo, s9
	v_cmp_gt_u32_e32 vcc_lo, 0x280, v0
	s_and_b32 exec_lo, exec_lo, vcc_lo
	;; [unrolled: 37-line block ×6, first 2 shown]
	s_cbranch_execz .LBB13_37
; %bb.35:
	v_or_b32_e32 v3, 0x80, v1
	s_delay_alu instid0(VALU_DEP_1) | instskip(NEXT) | instid1(VALU_DEP_1)
	v_mul_lo_u16 v1, 0xeb, v3
	v_lshrrev_b16 v4, 13, v1
	s_delay_alu instid0(VALU_DEP_1) | instskip(NEXT) | instid1(VALU_DEP_1)
	v_and_b32_e32 v1, 0xffff, v4
	v_add_nc_u32_e32 v1, v2, v1
	s_delay_alu instid0(VALU_DEP_1)
	v_cmp_gt_u32_e32 vcc_lo, 0x80, v1
	s_and_b32 exec_lo, exec_lo, vcc_lo
	s_cbranch_execz .LBB13_37
; %bb.36:
	v_mul_lo_u16 v2, v4, 35
	s_delay_alu instid0(VALU_DEP_1) | instskip(NEXT) | instid1(VALU_DEP_1)
	v_sub_nc_u16 v2, v3, v2
	v_and_b32_e32 v2, 0xff, v2
	s_delay_alu instid0(VALU_DEP_1) | instskip(SKIP_2) | instid1(VALU_DEP_3)
	v_mad_co_u64_u32 v[3:4], null, v1, s6, v[2:3]
	v_mul_lo_u32 v1, 0x8c, v1
	v_lshlrev_b32_e32 v2, 2, v2
	v_ashrrev_i32_e32 v4, 31, v3
	s_delay_alu instid0(VALU_DEP_2) | instskip(NEXT) | instid1(VALU_DEP_2)
	v_add3_u32 v1, 0, v1, v2
	v_lshlrev_b64_e32 v[3:4], 2, v[3:4]
	s_delay_alu instid0(VALU_DEP_1) | instskip(SKIP_1) | instid1(VALU_DEP_2)
	v_add_co_u32 v3, vcc_lo, s4, v3
	s_wait_alu 0xfffd
	v_add_co_ci_u32_e64 v4, null, s5, v4, vcc_lo
	global_load_b32 v3, v[3:4], off
	s_wait_loadcnt 0x0
	ds_store_b32 v1, v3
.LBB13_37:
	s_or_b32 exec_lo, exec_lo, s8
	s_clause 0x1
	s_load_b128 s[8:11], s[0:1], 0x8
	s_load_b64 s[4:5], s[0:1], 0x28
	s_ashr_i32 s6, s7, 2
	s_ashr_i32 s15, s7, 31
	s_wait_alu 0xfffe
	v_mul_lo_u32 v1, s6, v0
	s_mov_b32 s14, s7
	s_wait_dscnt 0x0
	s_mul_u64 s[6:7], s[2:3], s[14:15]
	s_barrier_signal -1
	s_barrier_wait -1
	global_inv scope:SCOPE_SE
	v_lshlrev_b32_e32 v6, 2, v0
	v_ashrrev_i32_e32 v2, 31, v1
	s_delay_alu instid0(VALU_DEP_1)
	v_lshlrev_b64_e32 v[1:2], 2, v[1:2]
	s_wait_kmcnt 0x0
	s_wait_alu 0xfffe
	s_add_nc_u64 s[6:7], s[8:9], s[6:7]
	s_cmp_eq_u64 s[10:11], 0
	s_wait_alu 0xfffe
	v_add_co_u32 v1, vcc_lo, s6, v1
	s_wait_alu 0xfffd
	v_add_co_ci_u32_e64 v2, null, s7, v2, vcc_lo
	global_load_b128 v[1:4], v[1:2], off
	s_cbranch_scc1 .LBB13_39
; %bb.38:
	s_lshl_b32 s6, s2, 2
	s_mov_b32 s7, 0
	s_wait_alu 0xfffe
	s_add_nc_u64 s[6:7], s[10:11], s[6:7]
	global_load_b32 v9, v6, s[6:7]
	s_branch .LBB13_40
.LBB13_39:
	v_mov_b32_e32 v9, 0
.LBB13_40:
	s_load_b64 s[6:7], s[0:1], 0x40
	s_wait_kmcnt 0x0
	s_sub_nc_u64 s[6:7], s[6:7], s[12:13]
	s_wait_alu 0xfffe
	v_cmp_lt_i64_e64 s8, s[6:7], 1
	s_and_b32 vcc_lo, exec_lo, s8
	s_wait_alu 0xfffe
	s_cbranch_vccnz .LBB13_43
; %bb.41:
	s_load_b96 s[8:10], s[0:1], 0x30
	v_mad_u32_u24 v0, 0x8c, v0, 0
	v_cmp_lt_u64_e64 s16, s[6:7], 32
	ds_load_b32 v5, v0
	s_wait_kmcnt 0x0
	s_mul_i32 s0, s10, ttmp9
	s_ashr_i32 s11, s9, 31
	s_mov_b32 s10, s9
	s_ashr_i32 s1, s0, 31
	s_ashr_i32 s15, s8, 31
	s_mov_b32 s14, s8
	s_mul_u64 s[10:11], s[12:13], s[10:11]
	s_add_nc_u64 s[0:1], s[4:5], s[0:1]
	s_mul_u64 s[2:3], s[2:3], s[14:15]
	s_add_nc_u64 s[0:1], s[0:1], s[10:11]
	s_ashr_i32 s4, s9, 2
	s_add_nc_u64 s[0:1], s[0:1], s[2:3]
	s_wait_alu 0xfffe
	s_ashr_i32 s5, s4, 31
	v_add_co_u32 v7, s0, s0, v6
	s_wait_alu 0xf1ff
	v_add_co_ci_u32_e64 v8, null, s1, 0, s0
	s_and_b32 s0, s16, exec_lo
	s_cselect_b32 s1, s7, 0
	s_cselect_b32 s0, s6, 32
	s_wait_alu 0xfffe
	s_lshl_b64 s[2:3], s[4:5], 2
.LBB13_42:                              ; =>This Inner Loop Header: Depth=1
	s_wait_loadcnt_dscnt 0x0
	v_fma_f32 v10, v1, v5, 0
	ds_load_2addr_b32 v[5:6], v0 offset0:1 offset1:2
	ds_load_b32 v11, v0 offset:12
	v_add_nc_u32_e32 v0, 4, v0
	s_add_nc_u64 s[0:1], s[0:1], -1
	s_wait_alu 0xfffe
	s_cmp_lg_u64 s[0:1], 0
	s_wait_dscnt 0x1
	v_fmac_f32_e32 v10, v2, v5
	s_delay_alu instid0(VALU_DEP_1) | instskip(SKIP_1) | instid1(VALU_DEP_1)
	v_fmac_f32_e32 v10, v3, v6
	s_wait_dscnt 0x0
	v_fmac_f32_e32 v10, v4, v11
	s_delay_alu instid0(VALU_DEP_1)
	v_add_f32_e32 v6, v9, v10
	global_store_b32 v[7:8], v6, off
	v_add_co_u32 v7, vcc_lo, v7, s2
	s_wait_alu 0xfffd
	v_add_co_ci_u32_e64 v8, null, s3, v8, vcc_lo
	s_cbranch_scc1 .LBB13_42
.LBB13_43:
	s_endpgm
	.section	.rodata,"a",@progbits
	.p2align	6, 0x0
	.amdhsa_kernel _ZL23ssm_conv_long_token_f32ILb0ELm128ELm4ELl32EEvPKfS1_S1_iiiiPfiiil
		.amdhsa_group_segment_fixed_size 0
		.amdhsa_private_segment_fixed_size 0
		.amdhsa_kernarg_size 72
		.amdhsa_user_sgpr_count 2
		.amdhsa_user_sgpr_dispatch_ptr 0
		.amdhsa_user_sgpr_queue_ptr 0
		.amdhsa_user_sgpr_kernarg_segment_ptr 1
		.amdhsa_user_sgpr_dispatch_id 0
		.amdhsa_user_sgpr_private_segment_size 0
		.amdhsa_wavefront_size32 1
		.amdhsa_uses_dynamic_stack 0
		.amdhsa_enable_private_segment 0
		.amdhsa_system_sgpr_workgroup_id_x 1
		.amdhsa_system_sgpr_workgroup_id_y 1
		.amdhsa_system_sgpr_workgroup_id_z 1
		.amdhsa_system_sgpr_workgroup_info 0
		.amdhsa_system_vgpr_workitem_id 0
		.amdhsa_next_free_vgpr 71
		.amdhsa_next_free_sgpr 18
		.amdhsa_reserve_vcc 1
		.amdhsa_float_round_mode_32 0
		.amdhsa_float_round_mode_16_64 0
		.amdhsa_float_denorm_mode_32 3
		.amdhsa_float_denorm_mode_16_64 3
		.amdhsa_fp16_overflow 0
		.amdhsa_workgroup_processor_mode 1
		.amdhsa_memory_ordered 1
		.amdhsa_forward_progress 1
		.amdhsa_inst_pref_size 53
		.amdhsa_round_robin_scheduling 0
		.amdhsa_exception_fp_ieee_invalid_op 0
		.amdhsa_exception_fp_denorm_src 0
		.amdhsa_exception_fp_ieee_div_zero 0
		.amdhsa_exception_fp_ieee_overflow 0
		.amdhsa_exception_fp_ieee_underflow 0
		.amdhsa_exception_fp_ieee_inexact 0
		.amdhsa_exception_int_div_zero 0
	.end_amdhsa_kernel
	.section	.text._ZL23ssm_conv_long_token_f32ILb0ELm128ELm4ELl32EEvPKfS1_S1_iiiiPfiiil,"axG",@progbits,_ZL23ssm_conv_long_token_f32ILb0ELm128ELm4ELl32EEvPKfS1_S1_iiiiPfiiil,comdat
.Lfunc_end13:
	.size	_ZL23ssm_conv_long_token_f32ILb0ELm128ELm4ELl32EEvPKfS1_S1_iiiiPfiiil, .Lfunc_end13-_ZL23ssm_conv_long_token_f32ILb0ELm128ELm4ELl32EEvPKfS1_S1_iiiiPfiiil
                                        ; -- End function
	.set _ZL23ssm_conv_long_token_f32ILb0ELm128ELm4ELl32EEvPKfS1_S1_iiiiPfiiil.num_vgpr, 71
	.set _ZL23ssm_conv_long_token_f32ILb0ELm128ELm4ELl32EEvPKfS1_S1_iiiiPfiiil.num_agpr, 0
	.set _ZL23ssm_conv_long_token_f32ILb0ELm128ELm4ELl32EEvPKfS1_S1_iiiiPfiiil.numbered_sgpr, 18
	.set _ZL23ssm_conv_long_token_f32ILb0ELm128ELm4ELl32EEvPKfS1_S1_iiiiPfiiil.num_named_barrier, 0
	.set _ZL23ssm_conv_long_token_f32ILb0ELm128ELm4ELl32EEvPKfS1_S1_iiiiPfiiil.private_seg_size, 0
	.set _ZL23ssm_conv_long_token_f32ILb0ELm128ELm4ELl32EEvPKfS1_S1_iiiiPfiiil.uses_vcc, 1
	.set _ZL23ssm_conv_long_token_f32ILb0ELm128ELm4ELl32EEvPKfS1_S1_iiiiPfiiil.uses_flat_scratch, 0
	.set _ZL23ssm_conv_long_token_f32ILb0ELm128ELm4ELl32EEvPKfS1_S1_iiiiPfiiil.has_dyn_sized_stack, 0
	.set _ZL23ssm_conv_long_token_f32ILb0ELm128ELm4ELl32EEvPKfS1_S1_iiiiPfiiil.has_recursion, 0
	.set _ZL23ssm_conv_long_token_f32ILb0ELm128ELm4ELl32EEvPKfS1_S1_iiiiPfiiil.has_indirect_call, 0
	.section	.AMDGPU.csdata,"",@progbits
; Kernel info:
; codeLenInByte = 6768
; TotalNumSgprs: 20
; NumVgprs: 71
; ScratchSize: 0
; MemoryBound: 0
; FloatMode: 240
; IeeeMode: 1
; LDSByteSize: 0 bytes/workgroup (compile time only)
; SGPRBlocks: 0
; VGPRBlocks: 8
; NumSGPRsForWavesPerEU: 20
; NumVGPRsForWavesPerEU: 71
; Occupancy: 16
; WaveLimiterHint : 0
; COMPUTE_PGM_RSRC2:SCRATCH_EN: 0
; COMPUTE_PGM_RSRC2:USER_SGPR: 2
; COMPUTE_PGM_RSRC2:TRAP_HANDLER: 0
; COMPUTE_PGM_RSRC2:TGID_X_EN: 1
; COMPUTE_PGM_RSRC2:TGID_Y_EN: 1
; COMPUTE_PGM_RSRC2:TGID_Z_EN: 1
; COMPUTE_PGM_RSRC2:TIDIG_COMP_CNT: 0
	.section	.text._ZL12ssm_conv_f32ILb0ELm128ELm5EEvPKfS1_S1_iiiiPfiiil,"axG",@progbits,_ZL12ssm_conv_f32ILb0ELm128ELm5EEvPKfS1_S1_iiiiPfiiil,comdat
	.globl	_ZL12ssm_conv_f32ILb0ELm128ELm5EEvPKfS1_S1_iiiiPfiiil ; -- Begin function _ZL12ssm_conv_f32ILb0ELm128ELm5EEvPKfS1_S1_iiiiPfiiil
	.p2align	8
	.type	_ZL12ssm_conv_f32ILb0ELm128ELm5EEvPKfS1_S1_iiiiPfiiil,@function
_ZL12ssm_conv_f32ILb0ELm128ELm5EEvPKfS1_S1_iiiiPfiiil: ; @_ZL12ssm_conv_f32ILb0ELm128ELm5EEvPKfS1_S1_iiiiPfiiil
; %bb.0:
	s_load_b64 s[2:3], s[0:1], 0x10
	s_mov_b32 s4, ttmp7
	s_ashr_i32 s5, ttmp7, 31
	v_lshlrev_b32_e32 v10, 2, v0
	s_lshl_b64 s[12:13], s[4:5], 7
	s_wait_kmcnt 0x0
	s_cmp_eq_u64 s[2:3], 0
	s_cbranch_scc1 .LBB14_2
; %bb.1:
	s_lshl_b64 s[4:5], s[12:13], 2
	s_delay_alu instid0(SALU_CYCLE_1)
	s_add_nc_u64 s[2:3], s[2:3], s[4:5]
	global_load_b32 v12, v10, s[2:3]
	s_load_b64 s[2:3], s[0:1], 0x40
	s_wait_kmcnt 0x0
	v_cmp_lt_i64_e64 s4, s[2:3], 1
	s_and_b32 vcc_lo, exec_lo, s4
	s_cbranch_vccz .LBB14_3
	s_branch .LBB14_6
.LBB14_2:
	v_mov_b32_e32 v12, 0
	s_load_b64 s[2:3], s[0:1], 0x40
	s_wait_kmcnt 0x0
	v_cmp_lt_i64_e64 s4, s[2:3], 1
	s_and_b32 vcc_lo, exec_lo, s4
	s_cbranch_vccnz .LBB14_6
.LBB14_3:
	s_clause 0x1
	s_load_b96 s[8:10], s[0:1], 0x1c
	s_load_b128 s[4:7], s[0:1], 0x0
	s_wait_kmcnt 0x0
	s_ashr_i32 s11, s10, 2
	s_ashr_i32 s14, s8, 2
	v_mul_lo_u32 v1, s11, v0
	v_mul_lo_u32 v3, s14, v0
	s_ashr_i32 s11, s10, 31
	s_mul_i32 s14, s9, ttmp9
	s_ashr_i32 s9, s8, 31
	s_wait_alu 0xfffe
	s_mul_u64 s[10:11], s[12:13], s[10:11]
	s_ashr_i32 s15, s14, 31
	s_mul_u64 s[8:9], s[12:13], s[8:9]
	v_ashrrev_i32_e32 v2, 31, v1
	v_ashrrev_i32_e32 v4, 31, v3
	s_wait_alu 0xfffe
	s_add_nc_u64 s[4:5], s[4:5], s[14:15]
	s_add_nc_u64 s[6:7], s[6:7], s[10:11]
	;; [unrolled: 1-line block ×3, first 2 shown]
	v_lshlrev_b64_e32 v[0:1], 2, v[1:2]
	v_lshlrev_b64_e32 v[2:3], 2, v[3:4]
	s_delay_alu instid0(VALU_DEP_2) | instskip(NEXT) | instid1(VALU_DEP_1)
	v_add_co_u32 v14, vcc_lo, s6, v0
	v_add_co_ci_u32_e64 v15, null, s7, v1, vcc_lo
	s_delay_alu instid0(VALU_DEP_3) | instskip(SKIP_1) | instid1(VALU_DEP_4)
	v_add_co_u32 v8, vcc_lo, s4, v2
	s_wait_alu 0xfffd
	v_add_co_ci_u32_e64 v9, null, s5, v3, vcc_lo
	global_load_b128 v[0:3], v[14:15], off
	s_clause 0x1
	global_load_b128 v[4:7], v[8:9], off
	global_load_b32 v13, v[8:9], off offset:16
	global_load_b32 v14, v[14:15], off offset:16
	s_clause 0x1
	s_load_b96 s[4:6], s[0:1], 0x30
	s_load_b64 s[0:1], s[0:1], 0x28
	s_wait_kmcnt 0x0
	s_mul_i32 s6, s6, ttmp9
	s_ashr_i32 s9, s4, 31
	s_wait_alu 0xfffe
	s_ashr_i32 s7, s6, 31
	s_mov_b32 s8, s4
	s_wait_alu 0xfffe
	s_add_nc_u64 s[0:1], s[0:1], s[6:7]
	s_mul_u64 s[8:9], s[12:13], s[8:9]
	s_cmp_eq_u64 s[2:3], 1
	s_add_nc_u64 s[6:7], s[0:1], s[8:9]
	s_wait_loadcnt 0x2
	v_fma_f32 v11, v0, v4, 0
	s_delay_alu instid0(VALU_DEP_1) | instskip(NEXT) | instid1(VALU_DEP_1)
	v_fmac_f32_e32 v11, v1, v5
	v_fmac_f32_e32 v11, v2, v6
	s_delay_alu instid0(VALU_DEP_1) | instskip(SKIP_1) | instid1(VALU_DEP_1)
	v_fmac_f32_e32 v11, v3, v7
	s_wait_loadcnt 0x0
	v_fmac_f32_e32 v11, v14, v13
	s_delay_alu instid0(VALU_DEP_1)
	v_add_f32_e32 v11, v12, v11
	global_store_b32 v10, v11, s[6:7]
	s_cbranch_scc1 .LBB14_6
; %bb.4:
	s_ashr_i32 s4, s5, 2
	s_add_nc_u64 s[6:7], s[2:3], -1
	s_wait_alu 0xfffe
	s_ashr_i32 s5, s4, 31
	v_add_co_u32 v8, vcc_lo, v8, 20
	s_wait_alu 0xfffe
	s_lshl_b64 s[4:5], s[4:5], 2
	s_wait_alu 0xfffd
	v_add_co_ci_u32_e64 v9, null, 0, v9, vcc_lo
	s_wait_alu 0xfffe
	s_add_nc_u64 s[2:3], s[8:9], s[4:5]
	s_mov_b64 s[8:9], 1
	s_wait_alu 0xfffe
	s_add_nc_u64 s[0:1], s[0:1], s[2:3]
	s_mov_b64 s[10:11], 5
	v_add_co_u32 v10, s0, s0, v10
	s_wait_alu 0xf1ff
	v_add_co_ci_u32_e64 v11, null, s1, 0, s0
	s_mov_b64 s[12:13], 4
	s_mov_b64 s[14:15], 0xcccccccd
	;; [unrolled: 1-line block ×6, first 2 shown]
	s_mov_b32 s25, 0
.LBB14_5:                               ; =>This Inner Loop Header: Depth=1
	global_load_b32 v15, v[8:9], off
	s_mov_b32 s24, s9
	s_mov_b32 s60, s8
	;; [unrolled: 1-line block ×3, first 2 shown]
	s_wait_alu 0xfffe
	s_mov_b32 s62, s10
	s_mov_b32 s63, s25
	s_mul_u64 s[72:73], s[24:25], s[14:15]
	s_mul_u64 s[74:75], s[60:61], s[14:15]
	;; [unrolled: 1-line block ×3, first 2 shown]
	s_mov_b32 s24, s11
	s_mul_u64 s[78:79], s[62:63], s[14:15]
	s_mov_b32 s55, s25
	s_mov_b32 s59, s25
	;; [unrolled: 1-line block ×4, first 2 shown]
	s_mul_u64 s[88:89], s[24:25], s[14:15]
	s_mul_u64 s[90:91], s[24:25], s[16:17]
	s_mov_b32 s24, s13
	s_mov_b32 s54, s75
	;; [unrolled: 1-line block ×5, first 2 shown]
	s_mul_u64 s[82:83], s[66:67], s[14:15]
	s_mul_u64 s[92:93], s[24:25], s[14:15]
	;; [unrolled: 1-line block ×3, first 2 shown]
	s_mov_b32 s24, s19
	s_add_nc_u64 s[54:55], s[72:73], s[54:55]
	s_add_nc_u64 s[58:59], s[88:89], s[58:59]
	s_mul_u64 s[80:81], s[64:65], s[14:15]
	s_mov_b32 s53, s25
	s_mov_b32 s70, s22
	;; [unrolled: 1-line block ×3, first 2 shown]
	s_mul_u64 s[60:61], s[60:61], s[16:17]
	s_mul_u64 s[62:63], s[62:63], s[16:17]
	s_mov_b32 s52, s83
	s_mul_u64 s[74:75], s[24:25], s[14:15]
	s_mul_u64 s[78:79], s[24:25], s[16:17]
	s_mov_b32 s24, s21
	s_mov_b32 s36, s55
	;; [unrolled: 1-line block ×9, first 2 shown]
	s_mul_u64 s[86:87], s[70:71], s[14:15]
	s_mul_u64 s[72:73], s[24:25], s[14:15]
	s_mul_u64 s[80:81], s[24:25], s[16:17]
	s_mov_b32 s24, s23
	s_add_nc_u64 s[54:55], s[60:61], s[54:55]
	s_add_nc_u64 s[58:59], s[62:63], s[58:59]
	;; [unrolled: 1-line block ×3, first 2 shown]
	s_mul_u64 s[84:85], s[68:69], s[14:15]
	s_add_nc_u64 s[56:57], s[92:93], s[56:57]
	s_mov_b32 s37, s25
	s_mov_b32 s39, s25
	;; [unrolled: 1-line block ×5, first 2 shown]
	s_mul_u64 s[66:67], s[66:67], s[16:17]
	s_mov_b32 s48, s87
	s_mul_u64 s[82:83], s[24:25], s[14:15]
	s_mov_b32 s38, s55
	s_mov_b32 s46, s59
	;; [unrolled: 1-line block ×5, first 2 shown]
	s_mul_u64 s[64:65], s[64:65], s[16:17]
	s_mov_b32 s50, s85
	s_mov_b32 s40, s57
	;; [unrolled: 1-line block ×3, first 2 shown]
	s_add_nc_u64 s[36:37], s[36:37], s[38:39]
	s_add_nc_u64 s[38:39], s[44:45], s[46:47]
	;; [unrolled: 1-line block ×6, first 2 shown]
	s_mov_b32 s31, s25
	s_mov_b32 s35, s25
	s_mul_u64 s[70:71], s[70:71], s[16:17]
	s_mov_b32 s34, s45
	s_mov_b32 s0, s47
	;; [unrolled: 1-line block ×5, first 2 shown]
	s_mul_u64 s[68:69], s[68:69], s[16:17]
	s_mov_b32 s42, s55
	s_mov_b32 s26, s51
	;; [unrolled: 1-line block ×3, first 2 shown]
	s_add_nc_u64 s[30:31], s[30:31], s[34:35]
	s_add_nc_u64 s[34:35], s[70:71], s[46:47]
	s_add_nc_u64 s[40:41], s[40:41], s[42:43]
	s_add_nc_u64 s[42:43], s[68:69], s[50:51]
	s_mov_b32 s1, s25
	s_mov_b32 s3, s25
	;; [unrolled: 1-line block ×6, first 2 shown]
	s_mul_u64 s[84:85], s[24:25], s[16:17]
	s_wait_alu 0xfffe
	s_add_nc_u64 s[0:1], s[0:1], s[2:3]
	s_add_nc_u64 s[36:37], s[76:77], s[36:37]
	;; [unrolled: 1-line block ×3, first 2 shown]
	s_wait_alu 0xfffe
	s_add_nc_u64 s[0:1], s[84:85], s[0:1]
	s_add_nc_u64 s[38:39], s[90:91], s[38:39]
	s_lshr_b64 s[36:37], s[36:37], 2
	s_add_nc_u64 s[40:41], s[94:95], s[40:41]
	s_add_nc_u64 s[30:31], s[78:79], s[30:31]
	;; [unrolled: 1-line block ×3, first 2 shown]
	s_wait_alu 0xfffe
	s_lshr_b64 s[0:1], s[0:1], 2
	s_lshr_b64 s[38:39], s[38:39], 2
	s_mul_i32 s24, s36, 5
	s_lshr_b64 s[36:37], s[40:41], 2
	s_lshr_b64 s[28:29], s[30:31], 2
	;; [unrolled: 1-line block ×3, first 2 shown]
	s_wait_alu 0xfffe
	s_mul_i32 s0, s0, 5
	s_mul_i32 s33, s38, 5
	;; [unrolled: 1-line block ×5, first 2 shown]
	s_wait_alu 0xfffe
	s_sub_co_i32 s3, s22, s0
	s_sub_co_i32 s24, s8, s24
	;; [unrolled: 1-line block ×6, first 2 shown]
	v_add_co_u32 v8, vcc_lo, v8, 4
	s_wait_alu 0xfffe
	s_cmp_eq_u32 s3, 4
	s_wait_alu 0xfffd
	v_add_co_ci_u32_e64 v9, null, 0, v9, vcc_lo
	s_cselect_b32 vcc_lo, -1, 0
	s_cmp_eq_u32 s3, 3
	s_add_nc_u64 s[6:7], s[6:7], -1
	s_cselect_b32 s0, -1, 0
	s_cmp_eq_u32 s3, 2
	s_add_nc_u64 s[8:9], s[8:9], 1
	s_cselect_b32 s1, -1, 0
	s_cmp_eq_u32 s3, 1
	s_add_nc_u64 s[10:11], s[10:11], 1
	;; [unrolled: 3-line block ×4, first 2 shown]
	s_add_nc_u64 s[20:21], s[20:21], 1
	s_add_nc_u64 s[22:23], s[22:23], 1
	s_wait_loadcnt 0x0
	s_wait_alu 0xfffe
	v_cndmask_b32_e64 v5, v5, v15, s2
	v_cndmask_b32_e64 v4, v4, v15, s3
	v_cndmask_b32_e32 v13, v13, v15, vcc_lo
	s_cselect_b32 vcc_lo, -1, 0
	v_cndmask_b32_e64 v7, v7, v15, s0
	v_cndmask_b32_e64 v6, v6, v15, s1
	s_wait_alu 0xfffe
	v_cndmask_b32_e32 v15, v4, v5, vcc_lo
	s_cmp_eq_u32 s24, 2
	s_cselect_b32 vcc_lo, -1, 0
	s_cmp_eq_u32 s24, 3
	s_wait_alu 0xfffe
	v_cndmask_b32_e32 v15, v15, v6, vcc_lo
	s_cselect_b32 vcc_lo, -1, 0
	s_cmp_eq_u32 s24, 4
	s_wait_alu 0xfffe
	s_delay_alu instid0(VALU_DEP_1)
	v_cndmask_b32_e32 v15, v15, v7, vcc_lo
	s_cselect_b32 vcc_lo, -1, 0
	s_cmp_eq_u32 s27, 1
	s_cselect_b32 s0, -1, 0
	s_cmp_eq_u32 s27, 2
	s_wait_alu 0xfffe
	v_cndmask_b32_e64 v16, v4, v5, s0
	s_cselect_b32 s0, -1, 0
	s_cmp_eq_u32 s27, 3
	v_cndmask_b32_e32 v15, v15, v13, vcc_lo
	s_cselect_b32 vcc_lo, -1, 0
	s_wait_alu 0xfffe
	v_cndmask_b32_e64 v16, v16, v6, s0
	s_cmp_eq_u32 s27, 4
	v_fma_f32 v15, v0, v15, 0
	s_delay_alu instid0(VALU_DEP_2)
	v_cndmask_b32_e32 v16, v16, v7, vcc_lo
	s_cselect_b32 vcc_lo, -1, 0
	s_cmp_eq_u32 s26, 1
	s_cselect_b32 s0, -1, 0
	s_cmp_eq_u32 s26, 2
	s_wait_alu 0xfffe
	v_cndmask_b32_e64 v17, v4, v5, s0
	s_cselect_b32 s0, -1, 0
	v_cndmask_b32_e32 v16, v16, v13, vcc_lo
	s_cmp_eq_u32 s26, 3
	s_wait_alu 0xfffe
	v_cndmask_b32_e64 v17, v17, v6, s0
	s_cselect_b32 vcc_lo, -1, 0
	s_cmp_eq_u32 s26, 4
	v_fmac_f32_e32 v15, v1, v16
	s_wait_alu 0xfffe
	v_cndmask_b32_e32 v16, v17, v7, vcc_lo
	s_cselect_b32 vcc_lo, -1, 0
	s_cmp_eq_u32 s29, 1
	s_cselect_b32 s0, -1, 0
	s_cmp_eq_u32 s29, 2
	s_wait_alu 0xfffe
	v_cndmask_b32_e64 v17, v4, v5, s0
	s_cselect_b32 s0, -1, 0
	v_cndmask_b32_e32 v16, v16, v13, vcc_lo
	s_cmp_eq_u32 s29, 3
	s_wait_alu 0xfffe
	v_cndmask_b32_e64 v17, v17, v6, s0
	s_cselect_b32 vcc_lo, -1, 0
	s_cmp_eq_u32 s29, 4
	s_wait_alu 0xfffe
	s_delay_alu instid0(VALU_DEP_1)
	v_dual_fmac_f32 v15, v2, v16 :: v_dual_cndmask_b32 v16, v17, v7
	s_cselect_b32 vcc_lo, -1, 0
	s_cmp_eq_u32 s33, 1
	s_cselect_b32 s0, -1, 0
	s_cmp_eq_u32 s33, 2
	s_wait_alu 0xfffe
	v_cndmask_b32_e64 v17, v4, v5, s0
	s_cselect_b32 s0, -1, 0
	v_cndmask_b32_e32 v16, v16, v13, vcc_lo
	s_cmp_eq_u32 s33, 3
	s_wait_alu 0xfffe
	v_cndmask_b32_e64 v17, v17, v6, s0
	s_cselect_b32 vcc_lo, -1, 0
	v_fmac_f32_e32 v15, v3, v16
	s_cmp_eq_u32 s33, 4
	s_wait_alu 0xfffe
	v_cndmask_b32_e32 v16, v17, v7, vcc_lo
	s_cselect_b32 vcc_lo, -1, 0
	s_cmp_eq_u64 s[6:7], 0
	s_wait_alu 0xfffe
	s_delay_alu instid0(VALU_DEP_1) | instskip(NEXT) | instid1(VALU_DEP_1)
	v_cndmask_b32_e32 v16, v16, v13, vcc_lo
	v_fmac_f32_e32 v15, v14, v16
	s_delay_alu instid0(VALU_DEP_1)
	v_add_f32_e32 v15, v12, v15
	global_store_b32 v[10:11], v15, off
	v_add_co_u32 v10, vcc_lo, v10, s4
	s_wait_alu 0xfffd
	v_add_co_ci_u32_e64 v11, null, s5, v11, vcc_lo
	s_cbranch_scc0 .LBB14_5
.LBB14_6:
	s_endpgm
	.section	.rodata,"a",@progbits
	.p2align	6, 0x0
	.amdhsa_kernel _ZL12ssm_conv_f32ILb0ELm128ELm5EEvPKfS1_S1_iiiiPfiiil
		.amdhsa_group_segment_fixed_size 0
		.amdhsa_private_segment_fixed_size 0
		.amdhsa_kernarg_size 72
		.amdhsa_user_sgpr_count 2
		.amdhsa_user_sgpr_dispatch_ptr 0
		.amdhsa_user_sgpr_queue_ptr 0
		.amdhsa_user_sgpr_kernarg_segment_ptr 1
		.amdhsa_user_sgpr_dispatch_id 0
		.amdhsa_user_sgpr_private_segment_size 0
		.amdhsa_wavefront_size32 1
		.amdhsa_uses_dynamic_stack 0
		.amdhsa_enable_private_segment 0
		.amdhsa_system_sgpr_workgroup_id_x 1
		.amdhsa_system_sgpr_workgroup_id_y 1
		.amdhsa_system_sgpr_workgroup_id_z 0
		.amdhsa_system_sgpr_workgroup_info 0
		.amdhsa_system_vgpr_workitem_id 0
		.amdhsa_next_free_vgpr 18
		.amdhsa_next_free_sgpr 96
		.amdhsa_reserve_vcc 1
		.amdhsa_float_round_mode_32 0
		.amdhsa_float_round_mode_16_64 0
		.amdhsa_float_denorm_mode_32 3
		.amdhsa_float_denorm_mode_16_64 3
		.amdhsa_fp16_overflow 0
		.amdhsa_workgroup_processor_mode 1
		.amdhsa_memory_ordered 1
		.amdhsa_forward_progress 1
		.amdhsa_inst_pref_size 14
		.amdhsa_round_robin_scheduling 0
		.amdhsa_exception_fp_ieee_invalid_op 0
		.amdhsa_exception_fp_denorm_src 0
		.amdhsa_exception_fp_ieee_div_zero 0
		.amdhsa_exception_fp_ieee_overflow 0
		.amdhsa_exception_fp_ieee_underflow 0
		.amdhsa_exception_fp_ieee_inexact 0
		.amdhsa_exception_int_div_zero 0
	.end_amdhsa_kernel
	.section	.text._ZL12ssm_conv_f32ILb0ELm128ELm5EEvPKfS1_S1_iiiiPfiiil,"axG",@progbits,_ZL12ssm_conv_f32ILb0ELm128ELm5EEvPKfS1_S1_iiiiPfiiil,comdat
.Lfunc_end14:
	.size	_ZL12ssm_conv_f32ILb0ELm128ELm5EEvPKfS1_S1_iiiiPfiiil, .Lfunc_end14-_ZL12ssm_conv_f32ILb0ELm128ELm5EEvPKfS1_S1_iiiiPfiiil
                                        ; -- End function
	.set _ZL12ssm_conv_f32ILb0ELm128ELm5EEvPKfS1_S1_iiiiPfiiil.num_vgpr, 18
	.set _ZL12ssm_conv_f32ILb0ELm128ELm5EEvPKfS1_S1_iiiiPfiiil.num_agpr, 0
	.set _ZL12ssm_conv_f32ILb0ELm128ELm5EEvPKfS1_S1_iiiiPfiiil.numbered_sgpr, 96
	.set _ZL12ssm_conv_f32ILb0ELm128ELm5EEvPKfS1_S1_iiiiPfiiil.num_named_barrier, 0
	.set _ZL12ssm_conv_f32ILb0ELm128ELm5EEvPKfS1_S1_iiiiPfiiil.private_seg_size, 0
	.set _ZL12ssm_conv_f32ILb0ELm128ELm5EEvPKfS1_S1_iiiiPfiiil.uses_vcc, 1
	.set _ZL12ssm_conv_f32ILb0ELm128ELm5EEvPKfS1_S1_iiiiPfiiil.uses_flat_scratch, 0
	.set _ZL12ssm_conv_f32ILb0ELm128ELm5EEvPKfS1_S1_iiiiPfiiil.has_dyn_sized_stack, 0
	.set _ZL12ssm_conv_f32ILb0ELm128ELm5EEvPKfS1_S1_iiiiPfiiil.has_recursion, 0
	.set _ZL12ssm_conv_f32ILb0ELm128ELm5EEvPKfS1_S1_iiiiPfiiil.has_indirect_call, 0
	.section	.AMDGPU.csdata,"",@progbits
; Kernel info:
; codeLenInByte = 1680
; TotalNumSgprs: 98
; NumVgprs: 18
; ScratchSize: 0
; MemoryBound: 0
; FloatMode: 240
; IeeeMode: 1
; LDSByteSize: 0 bytes/workgroup (compile time only)
; SGPRBlocks: 0
; VGPRBlocks: 2
; NumSGPRsForWavesPerEU: 98
; NumVGPRsForWavesPerEU: 18
; Occupancy: 16
; WaveLimiterHint : 0
; COMPUTE_PGM_RSRC2:SCRATCH_EN: 0
; COMPUTE_PGM_RSRC2:USER_SGPR: 2
; COMPUTE_PGM_RSRC2:TRAP_HANDLER: 0
; COMPUTE_PGM_RSRC2:TGID_X_EN: 1
; COMPUTE_PGM_RSRC2:TGID_Y_EN: 1
; COMPUTE_PGM_RSRC2:TGID_Z_EN: 0
; COMPUTE_PGM_RSRC2:TIDIG_COMP_CNT: 0
	.section	.text._ZL23ssm_conv_long_token_f32ILb0ELm128ELm5ELl32EEvPKfS1_S1_iiiiPfiiil,"axG",@progbits,_ZL23ssm_conv_long_token_f32ILb0ELm128ELm5ELl32EEvPKfS1_S1_iiiiPfiiil,comdat
	.globl	_ZL23ssm_conv_long_token_f32ILb0ELm128ELm5ELl32EEvPKfS1_S1_iiiiPfiiil ; -- Begin function _ZL23ssm_conv_long_token_f32ILb0ELm128ELm5ELl32EEvPKfS1_S1_iiiiPfiiil
	.p2align	8
	.type	_ZL23ssm_conv_long_token_f32ILb0ELm128ELm5ELl32EEvPKfS1_S1_iiiiPfiiil,@function
_ZL23ssm_conv_long_token_f32ILb0ELm128ELm5ELl32EEvPKfS1_S1_iiiiPfiiil: ; @_ZL23ssm_conv_long_token_f32ILb0ELm128ELm5ELl32EEvPKfS1_S1_iiiiPfiiil
; %bb.0:
	v_mul_u32_u24_e32 v1, 0x71d, v0
	s_clause 0x1
	s_load_b128 s[4:7], s[0:1], 0x18
	s_load_b64 s[8:9], s[0:1], 0x0
	s_lshr_b32 s10, ttmp7, 11
	s_and_b32 s2, ttmp7, 0xffff
	v_lshrrev_b32_e32 v13, 16, v1
	s_and_b32 s12, s10, 0x1fffe0
	s_mov_b32 s3, 0
	s_lshl_b32 s2, s2, 7
	s_mov_b32 s13, s3
	v_mul_lo_u16 v1, v13, 36
	s_delay_alu instid0(VALU_DEP_1) | instskip(NEXT) | instid1(VALU_DEP_1)
	v_sub_nc_u16 v14, v0, v1
	v_or_b32_e32 v1, 0x80, v14
	s_wait_kmcnt 0x0
	s_mul_i32 s10, s6, ttmp9
	s_ashr_i32 s6, s5, 2
	v_and_b32_e32 v14, 0xffff, v14
	s_ashr_i32 s15, s5, 31
	v_mul_lo_u16 v2, v1, 57
	s_mov_b32 s14, s5
	s_ashr_i32 s11, s10, 31
	s_ashr_i32 s17, s4, 31
	s_mov_b32 s16, s4
	v_lshrrev_b16 v15, 11, v2
	s_mul_u64 s[4:5], s[2:3], s[14:15]
	s_add_nc_u64 s[8:9], s[8:9], s[10:11]
	s_mul_u64 s[10:11], s[12:13], s[16:17]
	s_add_nc_u64 s[4:5], s[8:9], s[4:5]
	v_mul_lo_u16 v2, v15, 36
	v_and_b32_e32 v18, 0xffff, v15
	s_add_nc_u64 s[4:5], s[4:5], s[10:11]
	s_mov_b32 s8, exec_lo
	s_delay_alu instid0(VALU_DEP_2) | instskip(NEXT) | instid1(VALU_DEP_2)
	v_sub_nc_u16 v1, v1, v2
	v_add_nc_u32_e32 v43, v13, v18
	s_delay_alu instid0(VALU_DEP_2) | instskip(NEXT) | instid1(VALU_DEP_1)
	v_and_b32_e32 v1, 0xff, v1
	v_or_b32_e32 v2, 0x80, v1
	s_delay_alu instid0(VALU_DEP_1) | instskip(NEXT) | instid1(VALU_DEP_1)
	v_mul_lo_u16 v3, v2, 57
	v_lshrrev_b16 v19, 11, v3
	s_delay_alu instid0(VALU_DEP_1) | instskip(NEXT) | instid1(VALU_DEP_1)
	v_mul_lo_u16 v3, v19, 36
	v_sub_nc_u16 v2, v2, v3
	s_delay_alu instid0(VALU_DEP_1) | instskip(NEXT) | instid1(VALU_DEP_1)
	v_and_b32_e32 v2, 0xff, v2
	v_or_b32_e32 v3, 0x80, v2
	s_delay_alu instid0(VALU_DEP_1) | instskip(NEXT) | instid1(VALU_DEP_1)
	v_mul_lo_u16 v4, v3, 57
	v_lshrrev_b16 v22, 11, v4
	s_delay_alu instid0(VALU_DEP_1) | instskip(NEXT) | instid1(VALU_DEP_1)
	v_mul_lo_u16 v4, v22, 36
	v_sub_nc_u16 v3, v3, v4
	s_delay_alu instid0(VALU_DEP_1) | instskip(NEXT) | instid1(VALU_DEP_1)
	v_and_b32_e32 v3, 0xff, v3
	v_or_b32_e32 v4, 0x80, v3
	s_delay_alu instid0(VALU_DEP_1) | instskip(NEXT) | instid1(VALU_DEP_1)
	v_mul_lo_u16 v5, v4, 57
	v_lshrrev_b16 v24, 11, v5
	s_delay_alu instid0(VALU_DEP_1) | instskip(NEXT) | instid1(VALU_DEP_1)
	v_mul_lo_u16 v5, v24, 36
	v_sub_nc_u16 v4, v4, v5
	s_delay_alu instid0(VALU_DEP_1) | instskip(NEXT) | instid1(VALU_DEP_1)
	v_and_b32_e32 v4, 0xff, v4
	v_or_b32_e32 v5, 0x80, v4
	s_delay_alu instid0(VALU_DEP_1) | instskip(NEXT) | instid1(VALU_DEP_1)
	v_mul_lo_u16 v6, v5, 57
	v_lshrrev_b16 v26, 11, v6
	s_delay_alu instid0(VALU_DEP_1) | instskip(NEXT) | instid1(VALU_DEP_1)
	v_mul_lo_u16 v6, v26, 36
	v_sub_nc_u16 v5, v5, v6
	s_delay_alu instid0(VALU_DEP_1) | instskip(NEXT) | instid1(VALU_DEP_1)
	v_and_b32_e32 v5, 0xff, v5
	v_or_b32_e32 v6, 0x80, v5
	s_delay_alu instid0(VALU_DEP_1) | instskip(NEXT) | instid1(VALU_DEP_1)
	v_mul_lo_u16 v7, v6, 57
	v_lshrrev_b16 v29, 11, v7
	s_delay_alu instid0(VALU_DEP_1) | instskip(NEXT) | instid1(VALU_DEP_1)
	v_mul_lo_u16 v7, v29, 36
	v_sub_nc_u16 v6, v6, v7
	s_delay_alu instid0(VALU_DEP_1) | instskip(NEXT) | instid1(VALU_DEP_1)
	v_and_b32_e32 v6, 0xff, v6
	v_or_b32_e32 v7, 0x80, v6
	s_delay_alu instid0(VALU_DEP_1) | instskip(NEXT) | instid1(VALU_DEP_1)
	v_mul_lo_u16 v8, v7, 57
	v_lshrrev_b16 v31, 11, v8
	s_delay_alu instid0(VALU_DEP_1) | instskip(NEXT) | instid1(VALU_DEP_1)
	v_mul_lo_u16 v8, v31, 36
	v_sub_nc_u16 v7, v7, v8
	s_delay_alu instid0(VALU_DEP_1) | instskip(NEXT) | instid1(VALU_DEP_1)
	v_and_b32_e32 v7, 0xff, v7
	v_or_b32_e32 v8, 0x80, v7
	s_delay_alu instid0(VALU_DEP_1) | instskip(NEXT) | instid1(VALU_DEP_1)
	v_mul_lo_u16 v9, v8, 57
	v_lshrrev_b16 v33, 11, v9
	s_delay_alu instid0(VALU_DEP_1) | instskip(SKIP_1) | instid1(VALU_DEP_2)
	v_mul_lo_u16 v9, v33, 36
	v_and_b32_e32 v36, 0xffff, v33
	v_sub_nc_u16 v8, v8, v9
	s_delay_alu instid0(VALU_DEP_1) | instskip(NEXT) | instid1(VALU_DEP_1)
	v_and_b32_e32 v8, 0xff, v8
	v_or_b32_e32 v9, 0x80, v8
	s_delay_alu instid0(VALU_DEP_1) | instskip(NEXT) | instid1(VALU_DEP_1)
	v_mul_lo_u16 v10, v9, 57
	v_lshrrev_b16 v34, 11, v10
	s_delay_alu instid0(VALU_DEP_1) | instskip(SKIP_1) | instid1(VALU_DEP_2)
	v_mul_lo_u16 v10, v34, 36
	v_and_b32_e32 v34, 0xffff, v34
	v_sub_nc_u16 v9, v9, v10
	s_delay_alu instid0(VALU_DEP_1) | instskip(NEXT) | instid1(VALU_DEP_1)
	v_and_b32_e32 v9, 0xff, v9
	v_or_b32_e32 v10, 0x80, v9
	s_delay_alu instid0(VALU_DEP_1) | instskip(NEXT) | instid1(VALU_DEP_1)
	v_mul_lo_u16 v11, v10, 57
	v_lshrrev_b16 v38, 11, v11
	s_delay_alu instid0(VALU_DEP_1) | instskip(NEXT) | instid1(VALU_DEP_1)
	v_mul_lo_u16 v11, v38, 36
	v_sub_nc_u16 v10, v10, v11
	s_delay_alu instid0(VALU_DEP_1) | instskip(NEXT) | instid1(VALU_DEP_1)
	v_and_b32_e32 v10, 0xff, v10
	v_or_b32_e32 v11, 0x80, v10
	s_delay_alu instid0(VALU_DEP_1) | instskip(NEXT) | instid1(VALU_DEP_1)
	v_mul_lo_u16 v12, v11, 57
	v_lshrrev_b16 v40, 11, v12
	s_delay_alu instid0(VALU_DEP_1) | instskip(NEXT) | instid1(VALU_DEP_1)
	v_mul_lo_u16 v12, v40, 36
	;; [unrolled: 9-line block ×3, first 2 shown]
	v_sub_nc_u16 v12, v12, v16
	s_delay_alu instid0(VALU_DEP_1) | instskip(NEXT) | instid1(VALU_DEP_1)
	v_and_b32_e32 v12, 0xff, v12
	v_or_b32_e32 v17, 0x80, v12
	s_delay_alu instid0(VALU_DEP_1) | instskip(NEXT) | instid1(VALU_DEP_1)
	v_mul_lo_u16 v16, v17, 57
	v_lshrrev_b16 v42, 11, v16
	v_mad_co_u64_u32 v[15:16], null, s6, v13, v[14:15]
	v_lshlrev_b32_e32 v14, 2, v14
	s_delay_alu instid0(VALU_DEP_3) | instskip(NEXT) | instid1(VALU_DEP_3)
	v_mul_lo_u16 v20, v42, 36
	v_ashrrev_i32_e32 v16, 31, v15
	s_delay_alu instid0(VALU_DEP_2) | instskip(SKIP_2) | instid1(VALU_DEP_4)
	v_sub_nc_u16 v20, v17, v20
	v_mad_co_u64_u32 v[17:18], null, v43, s6, v[1:2]
	v_and_b32_e32 v18, 0xffff, v19
	v_lshlrev_b64_e32 v[15:16], 2, v[15:16]
	s_delay_alu instid0(VALU_DEP_4) | instskip(SKIP_1) | instid1(VALU_DEP_4)
	v_and_b32_e32 v19, 0xff, v20
	v_lshlrev_b32_e32 v1, 2, v1
	v_add_nc_u32_e32 v44, v43, v18
	v_ashrrev_i32_e32 v18, 31, v17
	s_delay_alu instid0(VALU_DEP_4) | instskip(SKIP_1) | instid1(VALU_DEP_4)
	v_or_b32_e32 v25, 0x80, v19
	v_add_co_u32 v15, vcc_lo, s4, v15
	v_mad_co_u64_u32 v[20:21], null, v44, s6, v[2:3]
	v_and_b32_e32 v21, 0xffff, v22
	s_delay_alu instid0(VALU_DEP_4) | instskip(SKIP_2) | instid1(VALU_DEP_4)
	v_mul_lo_u16 v22, v25, 57
	v_lshlrev_b64_e32 v[17:18], 2, v[17:18]
	v_add_co_ci_u32_e64 v16, null, s5, v16, vcc_lo
	v_add_nc_u32_e32 v45, v44, v21
	s_delay_alu instid0(VALU_DEP_4) | instskip(SKIP_2) | instid1(VALU_DEP_4)
	v_lshrrev_b16 v46, 11, v22
	v_ashrrev_i32_e32 v21, 31, v20
	v_add_co_u32 v17, vcc_lo, s4, v17
	v_mad_co_u64_u32 v[22:23], null, v45, s6, v[3:4]
	v_and_b32_e32 v23, 0xffff, v24
	v_mul_lo_u16 v24, v46, 36
	v_lshlrev_b64_e32 v[20:21], 2, v[20:21]
	s_wait_alu 0xfffd
	v_add_co_ci_u32_e64 v18, null, s5, v18, vcc_lo
	v_add_nc_u32_e32 v47, v45, v23
	v_sub_nc_u16 v27, v25, v24
	v_ashrrev_i32_e32 v23, 31, v22
	v_add_co_u32 v20, vcc_lo, s4, v20
	s_delay_alu instid0(VALU_DEP_4)
	v_mad_co_u64_u32 v[24:25], null, v47, s6, v[4:5]
	v_and_b32_e32 v25, 0xffff, v26
	v_and_b32_e32 v26, 0xff, v27
	v_lshlrev_b64_e32 v[22:23], 2, v[22:23]
	s_wait_alu 0xfffd
	v_add_co_ci_u32_e64 v21, null, s5, v21, vcc_lo
	v_add_nc_u32_e32 v48, v47, v25
	v_or_b32_e32 v32, 0x80, v26
	v_ashrrev_i32_e32 v25, 31, v24
	v_add_co_u32 v22, vcc_lo, s4, v22
	s_delay_alu instid0(VALU_DEP_4)
	v_mad_co_u64_u32 v[27:28], null, v48, s6, v[5:6]
	v_and_b32_e32 v28, 0xffff, v29
	v_mul_lo_u16 v29, v32, 57
	v_lshlrev_b64_e32 v[24:25], 2, v[24:25]
	s_wait_alu 0xfffd
	v_add_co_ci_u32_e64 v23, null, s5, v23, vcc_lo
	v_add_nc_u32_e32 v49, v48, v28
	v_lshrrev_b16 v50, 11, v29
	v_ashrrev_i32_e32 v28, 31, v27
	v_add_co_u32 v24, vcc_lo, s4, v24
	s_delay_alu instid0(VALU_DEP_4)
	v_mad_co_u64_u32 v[29:30], null, v49, s6, v[6:7]
	v_and_b32_e32 v30, 0xffff, v31
	v_mul_lo_u16 v31, v50, 36
	v_lshlrev_b64_e32 v[27:28], 2, v[27:28]
	s_wait_alu 0xfffd
	v_add_co_ci_u32_e64 v25, null, s5, v25, vcc_lo
	v_add_nc_u32_e32 v51, v49, v30
	v_sub_nc_u16 v35, v32, v31
	v_ashrrev_i32_e32 v30, 31, v29
	v_add_co_u32 v27, vcc_lo, s4, v27
	s_delay_alu instid0(VALU_DEP_4) | instskip(NEXT) | instid1(VALU_DEP_4)
	v_add_nc_u32_e32 v52, v51, v36
	v_and_b32_e32 v33, 0xff, v35
	v_mad_co_u64_u32 v[31:32], null, v51, s6, v[7:8]
	v_lshlrev_b64_e32 v[29:30], 2, v[29:30]
	s_delay_alu instid0(VALU_DEP_4) | instskip(NEXT) | instid1(VALU_DEP_4)
	v_add_nc_u32_e32 v53, v52, v34
	v_or_b32_e32 v39, 0x80, v33
	s_wait_alu 0xfffd
	v_add_co_ci_u32_e64 v28, null, s5, v28, vcc_lo
	v_lshlrev_b32_e32 v2, 2, v2
	v_mad_co_u64_u32 v[36:37], null, v53, s6, v[9:10]
	v_mul_lo_u16 v35, v39, 57
	v_ashrrev_i32_e32 v32, 31, v31
	v_add_co_u32 v29, vcc_lo, s4, v29
	s_wait_alu 0xfffd
	v_add_co_ci_u32_e64 v30, null, s5, v30, vcc_lo
	v_lshrrev_b16 v54, 11, v35
	v_mad_co_u64_u32 v[34:35], null, v52, s6, v[8:9]
	v_and_b32_e32 v35, 0xffff, v38
	v_lshlrev_b64_e32 v[31:32], 2, v[31:32]
	s_delay_alu instid0(VALU_DEP_4)
	v_mul_lo_u16 v37, v54, 36
	v_lshlrev_b32_e32 v4, 2, v4
	v_lshlrev_b32_e32 v5, 2, v5
	v_add_nc_u32_e32 v55, v53, v35
	v_ashrrev_i32_e32 v35, 31, v34
	v_sub_nc_u16 v56, v39, v37
	v_add_co_u32 v31, vcc_lo, s4, v31
	s_delay_alu instid0(VALU_DEP_4) | instskip(SKIP_1) | instid1(VALU_DEP_4)
	v_mad_co_u64_u32 v[38:39], null, v55, s6, v[10:11]
	v_and_b32_e32 v39, 0xffff, v40
	v_and_b32_e32 v40, 0xff, v56
	s_wait_alu 0xfffd
	v_add_co_ci_u32_e64 v32, null, s5, v32, vcc_lo
	s_clause 0x7
	global_load_b32 v56, v[15:16], off
	global_load_b32 v57, v[17:18], off
	;; [unrolled: 1-line block ×8, first 2 shown]
	v_add_nc_u32_e32 v63, v55, v39
	v_or_b32_e32 v24, 0x80, v40
	v_ashrrev_i32_e32 v37, 31, v36
	v_ashrrev_i32_e32 v39, 31, v38
	v_lshlrev_b64_e32 v[15:16], 2, v[34:35]
	v_mad_co_u64_u32 v[20:21], null, v63, s6, v[11:12]
	v_mul_lo_u16 v21, v24, 57
	v_lshlrev_b64_e32 v[17:18], 2, v[36:37]
	v_lshlrev_b64_e32 v[22:23], 2, v[38:39]
	v_add_co_u32 v15, vcc_lo, s4, v15
	s_delay_alu instid0(VALU_DEP_4) | instskip(SKIP_4) | instid1(VALU_DEP_3)
	v_lshrrev_b16 v30, 11, v21
	v_ashrrev_i32_e32 v21, 31, v20
	s_wait_alu 0xfffd
	v_add_co_ci_u32_e64 v16, null, s5, v16, vcc_lo
	v_add_co_u32 v17, vcc_lo, s4, v17
	v_lshlrev_b64_e32 v[20:21], 2, v[20:21]
	s_wait_alu 0xfffd
	v_add_co_ci_u32_e64 v18, null, s5, v18, vcc_lo
	v_add_co_u32 v22, vcc_lo, s4, v22
	s_wait_alu 0xfffd
	v_add_co_ci_u32_e64 v23, null, s5, v23, vcc_lo
	v_add_co_u32 v20, vcc_lo, s4, v20
	s_wait_alu 0xfffd
	v_add_co_ci_u32_e64 v21, null, s5, v21, vcc_lo
	v_and_b32_e32 v25, 0xffff, v41
	v_and_b32_e32 v28, 0xffff, v42
	s_clause 0x3
	global_load_b32 v38, v[15:16], off
	global_load_b32 v39, v[17:18], off
	;; [unrolled: 1-line block ×4, first 2 shown]
	v_mul_lo_u16 v27, v30, 36
	v_lshlrev_b32_e32 v6, 2, v6
	v_add_nc_u32_e32 v36, v63, v25
	s_delay_alu instid0(VALU_DEP_3) | instskip(NEXT) | instid1(VALU_DEP_2)
	v_sub_nc_u16 v27, v24, v27
	v_mad_co_u64_u32 v[24:25], null, v36, s6, v[12:13]
	v_add_nc_u32_e32 v37, v36, v28
	s_delay_alu instid0(VALU_DEP_3) | instskip(SKIP_1) | instid1(VALU_DEP_3)
	v_and_b32_e32 v27, 0xff, v27
	v_mul_u32_u24_e32 v13, 0x90, v13
	v_mad_co_u64_u32 v[28:29], null, v37, s6, v[19:20]
	s_delay_alu instid0(VALU_DEP_3)
	v_or_b32_e32 v31, 0x80, v27
	v_ashrrev_i32_e32 v25, 31, v24
	v_and_b32_e32 v29, 0xffff, v46
	v_add3_u32 v13, 0, v13, v14
	v_mul_u32_u24_e32 v14, 0x90, v48
	v_mul_lo_u16 v34, v31, 57
	v_lshlrev_b64_e32 v[15:16], 2, v[24:25]
	v_add_nc_u32_e32 v46, v37, v29
	v_ashrrev_i32_e32 v29, 31, v28
	s_delay_alu instid0(VALU_DEP_4) | instskip(NEXT) | instid1(VALU_DEP_3)
	v_lshrrev_b16 v25, 11, v34
	v_mad_co_u64_u32 v[17:18], null, v46, s6, v[26:27]
	v_and_b32_e32 v18, 0xffff, v50
	s_delay_alu instid0(VALU_DEP_3)
	v_mul_lo_u16 v22, v25, 36
	v_lshlrev_b64_e32 v[20:21], 2, v[28:29]
	v_and_b32_e32 v28, 0xffff, v54
	v_and_b32_e32 v25, 0xffff, v25
	v_add_nc_u32_e32 v50, v46, v18
	v_sub_nc_u16 v24, v31, v22
	v_ashrrev_i32_e32 v18, 31, v17
	v_add_co_u32 v15, vcc_lo, s4, v15
	s_delay_alu instid0(VALU_DEP_4) | instskip(NEXT) | instid1(VALU_DEP_4)
	v_mad_co_u64_u32 v[22:23], null, v50, s6, v[33:34]
	v_and_b32_e32 v24, 0xff, v24
	v_add_nc_u32_e32 v54, v50, v28
	v_and_b32_e32 v28, 0xffff, v30
	v_lshlrev_b64_e32 v[17:18], 2, v[17:18]
	s_wait_alu 0xfffd
	v_add_co_ci_u32_e64 v16, null, s5, v16, vcc_lo
	v_or_b32_e32 v34, 0x80, v24
	v_add_nc_u32_e32 v64, v54, v28
	v_ashrrev_i32_e32 v23, 31, v22
	v_add_co_u32 v20, vcc_lo, s4, v20
	s_delay_alu instid0(VALU_DEP_4)
	v_mul_lo_u16 v29, v34, 57
	s_wait_alu 0xfffd
	v_add_co_ci_u32_e64 v21, null, s5, v21, vcc_lo
	v_lshlrev_b64_e32 v[22:23], 2, v[22:23]
	v_add_co_u32 v17, vcc_lo, s4, v17
	v_lshrrev_b16 v35, 11, v29
	v_add_nc_u32_e32 v65, v64, v25
	s_wait_alu 0xfffd
	v_add_co_ci_u32_e64 v18, null, s5, v18, vcc_lo
	v_add_co_u32 v22, vcc_lo, s4, v22
	v_and_b32_e32 v25, 0xffff, v35
	s_wait_alu 0xfffd
	v_add_co_ci_u32_e64 v23, null, s5, v23, vcc_lo
	s_delay_alu instid0(VALU_DEP_2) | instskip(SKIP_2) | instid1(VALU_DEP_1)
	v_add_nc_u32_e32 v67, v65, v25
	s_wait_loadcnt 0x1
	v_mad_co_u64_u32 v[28:29], null, v54, s6, v[40:41]
	v_mad_co_u64_u32 v[30:31], null, v64, s6, v[27:28]
	v_mul_lo_u16 v31, v35, 36
	v_ashrrev_i32_e32 v29, 31, v28
	s_delay_alu instid0(VALU_DEP_2) | instskip(SKIP_2) | instid1(VALU_DEP_3)
	v_sub_nc_u16 v66, v34, v31
	v_mad_co_u64_u32 v[34:35], null, v65, s6, v[24:25]
	v_ashrrev_i32_e32 v31, 31, v30
	v_and_b32_e32 v25, 0xff, v66
	s_clause 0x3
	global_load_b32 v66, v[15:16], off
	global_load_b32 v68, v[20:21], off
	;; [unrolled: 1-line block ×4, first 2 shown]
	v_lshlrev_b64_e32 v[15:16], 2, v[28:29]
	v_lshlrev_b64_e32 v[20:21], 2, v[30:31]
	v_ashrrev_i32_e32 v35, 31, v34
	v_mad_co_u64_u32 v[17:18], null, v67, s6, v[25:26]
	s_delay_alu instid0(VALU_DEP_4) | instskip(NEXT) | instid1(VALU_DEP_3)
	v_add_co_u32 v15, vcc_lo, s4, v15
	v_lshlrev_b64_e32 v[22:23], 2, v[34:35]
	s_wait_alu 0xfffd
	v_add_co_ci_u32_e64 v16, null, s5, v16, vcc_lo
	s_delay_alu instid0(VALU_DEP_4) | instskip(SKIP_3) | instid1(VALU_DEP_3)
	v_ashrrev_i32_e32 v18, 31, v17
	v_add_co_u32 v20, vcc_lo, s4, v20
	s_wait_alu 0xfffd
	v_add_co_ci_u32_e64 v21, null, s5, v21, vcc_lo
	v_lshlrev_b64_e32 v[17:18], 2, v[17:18]
	v_add_co_u32 v22, vcc_lo, s4, v22
	s_wait_alu 0xfffd
	v_add_co_ci_u32_e64 v23, null, s5, v23, vcc_lo
	s_delay_alu instid0(VALU_DEP_3)
	v_add_co_u32 v17, vcc_lo, s4, v17
	s_wait_alu 0xfffd
	v_add_co_ci_u32_e64 v18, null, s5, v18, vcc_lo
	s_clause 0x3
	global_load_b32 v15, v[15:16], off
	global_load_b32 v16, v[20:21], off
	;; [unrolled: 1-line block ×4, first 2 shown]
	v_mul_u32_u24_e32 v18, 0x90, v43
	v_mul_u32_u24_e32 v21, 0x90, v44
	s_delay_alu instid0(VALU_DEP_2) | instskip(NEXT) | instid1(VALU_DEP_2)
	v_add3_u32 v1, 0, v18, v1
	v_add3_u32 v2, 0, v21, v2
	ds_store_b32 v13, v56
	ds_store_b32 v1, v57
	;; [unrolled: 1-line block ×3, first 2 shown]
	v_mul_u32_u24_e32 v1, 0x90, v45
	v_lshlrev_b32_e32 v2, 2, v3
	v_mul_u32_u24_e32 v3, 0x90, v47
	v_mul_lo_u32 v13, 0x90, v49
	s_delay_alu instid0(VALU_DEP_3) | instskip(NEXT) | instid1(VALU_DEP_3)
	v_add3_u32 v1, 0, v1, v2
	v_add3_u32 v2, 0, v3, v4
	v_mul_lo_u32 v3, 0x90, v51
	v_add3_u32 v4, 0, v14, v5
	v_add3_u32 v5, 0, v13, v6
	v_lshlrev_b32_e32 v6, 2, v7
	ds_store_b32 v1, v59
	ds_store_b32 v2, v60
	;; [unrolled: 1-line block ×4, first 2 shown]
	v_mul_lo_u32 v2, 0x90, v52
	v_mul_lo_u32 v4, 0x90, v53
	v_lshlrev_b32_e32 v5, 2, v9
	v_add3_u32 v1, 0, v3, v6
	v_lshlrev_b32_e32 v3, 2, v8
	v_mul_lo_u32 v6, 0x90, v55
	v_mul_lo_u32 v7, 0x90, v63
	v_lshlrev_b32_e32 v8, 2, v11
	ds_store_b32 v1, v32
	v_lshlrev_b32_e32 v1, 2, v10
	v_add3_u32 v2, 0, v2, v3
	v_add3_u32 v3, 0, v4, v5
	v_mul_lo_u32 v4, 0x90, v36
	v_lshlrev_b32_e32 v9, 2, v24
	v_add3_u32 v1, 0, v6, v1
	v_lshlrev_b32_e32 v6, 2, v12
	v_add3_u32 v5, 0, v7, v8
	ds_store_b32 v2, v38
	ds_store_b32 v3, v39
	ds_store_b32 v1, v41
	s_wait_loadcnt 0x8
	ds_store_b32 v5, v42
	v_mul_lo_u32 v2, 0x90, v37
	v_add3_u32 v1, 0, v4, v6
	v_mul_lo_u32 v5, 0x90, v50
	v_mul_lo_u32 v3, 0x90, v46
	v_lshlrev_b32_e32 v4, 2, v19
	v_or_b32_e32 v7, 0x80, v25
	v_lshlrev_b32_e32 v6, 2, v26
	v_lshlrev_b32_e32 v8, 2, v27
	;; [unrolled: 1-line block ×3, first 2 shown]
	v_add3_u32 v2, 0, v2, v4
	v_mul_lo_u32 v4, 0x90, v54
	v_add3_u32 v3, 0, v3, v6
	v_lshlrev_b32_e32 v6, 2, v40
	s_wait_loadcnt 0x7
	ds_store_b32 v1, v66
	v_lshlrev_b32_e32 v1, 2, v33
	s_delay_alu instid0(VALU_DEP_1)
	v_add3_u32 v1, 0, v5, v1
	v_mul_lo_u16 v5, v7, 57
	s_wait_loadcnt 0x6
	ds_store_b32 v2, v68
	s_wait_loadcnt 0x5
	ds_store_b32 v3, v69
	;; [unrolled: 2-line block ×3, first 2 shown]
	v_add3_u32 v3, 0, v4, v6
	v_mul_lo_u32 v4, 0x90, v64
	v_lshrrev_b16 v1, 11, v5
	v_mul_lo_u32 v5, 0x90, v65
	v_mul_lo_u32 v6, 0x90, v67
	s_delay_alu instid0(VALU_DEP_3) | instskip(SKIP_3) | instid1(VALU_DEP_4)
	v_mul_lo_u16 v2, v1, 36
	v_and_b32_e32 v1, 0xffff, v1
	v_add3_u32 v4, 0, v4, v8
	v_add3_u32 v5, 0, v5, v9
	v_sub_nc_u16 v7, v7, v2
	s_delay_alu instid0(VALU_DEP_4)
	v_add_nc_u32_e32 v2, v67, v1
	v_add3_u32 v6, 0, v6, v10
	s_wait_loadcnt 0x3
	ds_store_b32 v3, v15
	s_wait_loadcnt 0x2
	ds_store_b32 v4, v16
	;; [unrolled: 2-line block ×4, first 2 shown]
	v_and_b32_e32 v1, 0xff, v7
	v_cmpx_gt_u32_e32 0x80, v2
	s_cbranch_execz .LBB15_2
; %bb.1:
	s_delay_alu instid0(VALU_DEP_2) | instskip(SKIP_1) | instid1(VALU_DEP_2)
	v_mad_co_u64_u32 v[3:4], null, v2, s6, v[1:2]
	v_lshlrev_b32_e32 v5, 2, v1
	v_ashrrev_i32_e32 v4, 31, v3
	s_delay_alu instid0(VALU_DEP_1) | instskip(NEXT) | instid1(VALU_DEP_1)
	v_lshlrev_b64_e32 v[3:4], 2, v[3:4]
	v_add_co_u32 v3, vcc_lo, s4, v3
	s_wait_alu 0xfffd
	s_delay_alu instid0(VALU_DEP_2) | instskip(SKIP_2) | instid1(VALU_DEP_1)
	v_add_co_ci_u32_e64 v4, null, s5, v4, vcc_lo
	global_load_b32 v3, v[3:4], off
	v_mul_lo_u32 v4, 0x90, v2
	v_add3_u32 v4, 0, v4, v5
	s_wait_loadcnt 0x0
	ds_store_b32 v4, v3
.LBB15_2:
	s_or_b32 exec_lo, exec_lo, s8
	s_delay_alu instid0(VALU_DEP_2) | instskip(SKIP_1) | instid1(VALU_DEP_1)
	v_or_b32_e32 v1, 0x80, v1
	s_mov_b32 s8, exec_lo
	v_mul_lo_u16 v3, v1, 57
	s_delay_alu instid0(VALU_DEP_1) | instskip(NEXT) | instid1(VALU_DEP_1)
	v_lshrrev_b16 v3, 11, v3
	v_mul_lo_u16 v4, v3, 36
	v_and_b32_e32 v3, 0xffff, v3
	s_delay_alu instid0(VALU_DEP_2) | instskip(NEXT) | instid1(VALU_DEP_2)
	v_sub_nc_u16 v1, v1, v4
	v_add_nc_u32_e32 v2, v2, v3
	s_delay_alu instid0(VALU_DEP_2) | instskip(NEXT) | instid1(VALU_DEP_2)
	v_and_b32_e32 v1, 0xff, v1
	v_cmpx_gt_u32_e32 0x80, v2
	s_cbranch_execz .LBB15_4
; %bb.3:
	s_delay_alu instid0(VALU_DEP_2) | instskip(SKIP_1) | instid1(VALU_DEP_2)
	v_mad_co_u64_u32 v[3:4], null, v2, s6, v[1:2]
	v_lshlrev_b32_e32 v5, 2, v1
	v_ashrrev_i32_e32 v4, 31, v3
	s_delay_alu instid0(VALU_DEP_1) | instskip(NEXT) | instid1(VALU_DEP_1)
	v_lshlrev_b64_e32 v[3:4], 2, v[3:4]
	v_add_co_u32 v3, vcc_lo, s4, v3
	s_wait_alu 0xfffd
	s_delay_alu instid0(VALU_DEP_2) | instskip(SKIP_2) | instid1(VALU_DEP_1)
	v_add_co_ci_u32_e64 v4, null, s5, v4, vcc_lo
	global_load_b32 v3, v[3:4], off
	v_mul_lo_u32 v4, 0x90, v2
	v_add3_u32 v4, 0, v4, v5
	s_wait_loadcnt 0x0
	ds_store_b32 v4, v3
.LBB15_4:
	s_or_b32 exec_lo, exec_lo, s8
	s_delay_alu instid0(VALU_DEP_2) | instskip(SKIP_1) | instid1(VALU_DEP_1)
	v_or_b32_e32 v1, 0x80, v1
	s_mov_b32 s8, exec_lo
	v_mul_lo_u16 v3, v1, 57
	s_delay_alu instid0(VALU_DEP_1) | instskip(NEXT) | instid1(VALU_DEP_1)
	v_lshrrev_b16 v3, 11, v3
	v_mul_lo_u16 v4, v3, 36
	v_and_b32_e32 v3, 0xffff, v3
	s_delay_alu instid0(VALU_DEP_2) | instskip(NEXT) | instid1(VALU_DEP_2)
	v_sub_nc_u16 v1, v1, v4
	v_add_nc_u32_e32 v2, v2, v3
	s_delay_alu instid0(VALU_DEP_2) | instskip(NEXT) | instid1(VALU_DEP_2)
	;; [unrolled: 33-line block ×8, first 2 shown]
	v_and_b32_e32 v1, 0xff, v1
	v_cmpx_gt_u32_e32 0x80, v2
	s_cbranch_execz .LBB15_18
; %bb.17:
	s_delay_alu instid0(VALU_DEP_2) | instskip(SKIP_1) | instid1(VALU_DEP_2)
	v_mad_co_u64_u32 v[3:4], null, v2, s6, v[1:2]
	v_lshlrev_b32_e32 v5, 2, v1
	v_ashrrev_i32_e32 v4, 31, v3
	s_delay_alu instid0(VALU_DEP_1) | instskip(NEXT) | instid1(VALU_DEP_1)
	v_lshlrev_b64_e32 v[3:4], 2, v[3:4]
	v_add_co_u32 v3, vcc_lo, s4, v3
	s_wait_alu 0xfffd
	s_delay_alu instid0(VALU_DEP_2) | instskip(SKIP_2) | instid1(VALU_DEP_1)
	v_add_co_ci_u32_e64 v4, null, s5, v4, vcc_lo
	global_load_b32 v3, v[3:4], off
	v_mul_lo_u32 v4, 0x90, v2
	v_add3_u32 v4, 0, v4, v5
	s_wait_loadcnt 0x0
	ds_store_b32 v4, v3
.LBB15_18:
	s_or_b32 exec_lo, exec_lo, s8
	s_delay_alu instid0(SALU_CYCLE_1)
	s_mov_b32 s8, exec_lo
	v_cmpx_gt_u32_e32 0x380, v0
	s_cbranch_execz .LBB15_39
; %bb.19:
	v_or_b32_e32 v1, 0x80, v1
	s_mov_b32 s9, exec_lo
	s_delay_alu instid0(VALU_DEP_1) | instskip(NEXT) | instid1(VALU_DEP_1)
	v_mul_lo_u16 v3, v1, 57
	v_lshrrev_b16 v3, 11, v3
	s_delay_alu instid0(VALU_DEP_1) | instskip(SKIP_1) | instid1(VALU_DEP_2)
	v_mul_lo_u16 v4, v3, 36
	v_and_b32_e32 v3, 0xffff, v3
	v_sub_nc_u16 v1, v1, v4
	s_delay_alu instid0(VALU_DEP_2) | instskip(NEXT) | instid1(VALU_DEP_2)
	v_add_nc_u32_e32 v2, v2, v3
	v_and_b32_e32 v1, 0xff, v1
	s_delay_alu instid0(VALU_DEP_2)
	v_cmpx_gt_u32_e32 0x80, v2
	s_cbranch_execz .LBB15_21
; %bb.20:
	s_delay_alu instid0(VALU_DEP_2) | instskip(SKIP_1) | instid1(VALU_DEP_2)
	v_mad_co_u64_u32 v[3:4], null, v2, s6, v[1:2]
	v_lshlrev_b32_e32 v5, 2, v1
	v_ashrrev_i32_e32 v4, 31, v3
	s_delay_alu instid0(VALU_DEP_1) | instskip(NEXT) | instid1(VALU_DEP_1)
	v_lshlrev_b64_e32 v[3:4], 2, v[3:4]
	v_add_co_u32 v3, vcc_lo, s4, v3
	s_wait_alu 0xfffd
	s_delay_alu instid0(VALU_DEP_2) | instskip(SKIP_2) | instid1(VALU_DEP_1)
	v_add_co_ci_u32_e64 v4, null, s5, v4, vcc_lo
	global_load_b32 v3, v[3:4], off
	v_mul_lo_u32 v4, 0x90, v2
	v_add3_u32 v4, 0, v4, v5
	s_wait_loadcnt 0x0
	ds_store_b32 v4, v3
.LBB15_21:
	s_or_b32 exec_lo, exec_lo, s9
	v_cmp_gt_u32_e32 vcc_lo, 0x300, v0
	s_and_b32 exec_lo, exec_lo, vcc_lo
	s_cbranch_execz .LBB15_39
; %bb.22:
	v_or_b32_e32 v1, 0x80, v1
	s_mov_b32 s9, exec_lo
	s_delay_alu instid0(VALU_DEP_1) | instskip(NEXT) | instid1(VALU_DEP_1)
	v_mul_lo_u16 v3, v1, 57
	v_lshrrev_b16 v3, 11, v3
	s_delay_alu instid0(VALU_DEP_1) | instskip(SKIP_1) | instid1(VALU_DEP_2)
	v_mul_lo_u16 v4, v3, 36
	v_and_b32_e32 v3, 0xffff, v3
	v_sub_nc_u16 v1, v1, v4
	s_delay_alu instid0(VALU_DEP_2) | instskip(NEXT) | instid1(VALU_DEP_2)
	v_add_nc_u32_e32 v2, v2, v3
	v_and_b32_e32 v1, 0xff, v1
	s_delay_alu instid0(VALU_DEP_2)
	v_cmpx_gt_u32_e32 0x80, v2
	s_cbranch_execz .LBB15_24
; %bb.23:
	s_delay_alu instid0(VALU_DEP_2) | instskip(SKIP_1) | instid1(VALU_DEP_2)
	v_mad_co_u64_u32 v[3:4], null, v2, s6, v[1:2]
	v_lshlrev_b32_e32 v5, 2, v1
	v_ashrrev_i32_e32 v4, 31, v3
	s_delay_alu instid0(VALU_DEP_1) | instskip(NEXT) | instid1(VALU_DEP_1)
	v_lshlrev_b64_e32 v[3:4], 2, v[3:4]
	v_add_co_u32 v3, vcc_lo, s4, v3
	s_wait_alu 0xfffd
	s_delay_alu instid0(VALU_DEP_2) | instskip(SKIP_2) | instid1(VALU_DEP_1)
	v_add_co_ci_u32_e64 v4, null, s5, v4, vcc_lo
	global_load_b32 v3, v[3:4], off
	v_mul_lo_u32 v4, 0x90, v2
	v_add3_u32 v4, 0, v4, v5
	s_wait_loadcnt 0x0
	ds_store_b32 v4, v3
.LBB15_24:
	s_or_b32 exec_lo, exec_lo, s9
	v_cmp_gt_u32_e32 vcc_lo, 0x280, v0
	s_and_b32 exec_lo, exec_lo, vcc_lo
	;; [unrolled: 37-line block ×6, first 2 shown]
	s_cbranch_execz .LBB15_39
; %bb.37:
	v_or_b32_e32 v3, 0x80, v1
	s_delay_alu instid0(VALU_DEP_1) | instskip(NEXT) | instid1(VALU_DEP_1)
	v_mul_lo_u16 v1, v3, 57
	v_lshrrev_b16 v4, 11, v1
	s_delay_alu instid0(VALU_DEP_1) | instskip(NEXT) | instid1(VALU_DEP_1)
	v_and_b32_e32 v1, 0xffff, v4
	v_add_nc_u32_e32 v1, v2, v1
	s_delay_alu instid0(VALU_DEP_1)
	v_cmp_gt_u32_e32 vcc_lo, 0x80, v1
	s_and_b32 exec_lo, exec_lo, vcc_lo
	s_cbranch_execz .LBB15_39
; %bb.38:
	v_mul_lo_u16 v2, v4, 36
	s_delay_alu instid0(VALU_DEP_1) | instskip(NEXT) | instid1(VALU_DEP_1)
	v_sub_nc_u16 v2, v3, v2
	v_and_b32_e32 v2, 0xff, v2
	s_delay_alu instid0(VALU_DEP_1) | instskip(SKIP_2) | instid1(VALU_DEP_3)
	v_mad_co_u64_u32 v[3:4], null, v1, s6, v[2:3]
	v_mul_lo_u32 v1, 0x90, v1
	v_lshlrev_b32_e32 v2, 2, v2
	v_ashrrev_i32_e32 v4, 31, v3
	s_delay_alu instid0(VALU_DEP_2) | instskip(NEXT) | instid1(VALU_DEP_2)
	v_add3_u32 v1, 0, v1, v2
	v_lshlrev_b64_e32 v[3:4], 2, v[3:4]
	s_delay_alu instid0(VALU_DEP_1) | instskip(SKIP_1) | instid1(VALU_DEP_2)
	v_add_co_u32 v3, vcc_lo, s4, v3
	s_wait_alu 0xfffd
	v_add_co_ci_u32_e64 v4, null, s5, v4, vcc_lo
	global_load_b32 v3, v[3:4], off
	s_wait_loadcnt 0x0
	ds_store_b32 v1, v3
.LBB15_39:
	s_or_b32 exec_lo, exec_lo, s8
	s_clause 0x1
	s_load_b128 s[8:11], s[0:1], 0x8
	s_load_b64 s[4:5], s[0:1], 0x28
	s_ashr_i32 s6, s7, 2
	s_ashr_i32 s15, s7, 31
	s_wait_alu 0xfffe
	v_mul_lo_u32 v1, s6, v0
	s_mov_b32 s14, s7
	s_wait_dscnt 0x0
	s_mul_u64 s[6:7], s[2:3], s[14:15]
	s_barrier_signal -1
	s_barrier_wait -1
	global_inv scope:SCOPE_SE
	v_lshlrev_b32_e32 v6, 2, v0
	v_ashrrev_i32_e32 v2, 31, v1
	s_delay_alu instid0(VALU_DEP_1)
	v_lshlrev_b64_e32 v[1:2], 2, v[1:2]
	s_wait_kmcnt 0x0
	s_wait_alu 0xfffe
	s_add_nc_u64 s[6:7], s[8:9], s[6:7]
	s_cmp_eq_u64 s[10:11], 0
	s_wait_alu 0xfffe
	v_add_co_u32 v1, vcc_lo, s6, v1
	s_wait_alu 0xfffd
	v_add_co_ci_u32_e64 v2, null, s7, v2, vcc_lo
	s_clause 0x1
	global_load_b32 v9, v[1:2], off offset:16
	global_load_b128 v[1:4], v[1:2], off
	s_cbranch_scc1 .LBB15_41
; %bb.40:
	s_lshl_b32 s6, s2, 2
	s_mov_b32 s7, 0
	s_wait_alu 0xfffe
	s_add_nc_u64 s[6:7], s[10:11], s[6:7]
	global_load_b32 v10, v6, s[6:7]
	s_branch .LBB15_42
.LBB15_41:
	v_mov_b32_e32 v10, 0
.LBB15_42:
	s_load_b64 s[6:7], s[0:1], 0x40
	s_wait_kmcnt 0x0
	s_sub_nc_u64 s[6:7], s[6:7], s[12:13]
	s_wait_alu 0xfffe
	v_cmp_lt_i64_e64 s8, s[6:7], 1
	s_and_b32 vcc_lo, exec_lo, s8
	s_wait_alu 0xfffe
	s_cbranch_vccnz .LBB15_45
; %bb.43:
	s_load_b96 s[8:10], s[0:1], 0x30
	v_mad_u32_u24 v0, 0x90, v0, 0
	v_cmp_lt_u64_e64 s16, s[6:7], 32
	ds_load_b32 v5, v0
	s_wait_kmcnt 0x0
	s_mul_i32 s0, s10, ttmp9
	s_ashr_i32 s11, s9, 31
	s_mov_b32 s10, s9
	s_ashr_i32 s1, s0, 31
	s_ashr_i32 s15, s8, 31
	s_mov_b32 s14, s8
	s_mul_u64 s[10:11], s[12:13], s[10:11]
	s_add_nc_u64 s[0:1], s[4:5], s[0:1]
	s_mul_u64 s[2:3], s[2:3], s[14:15]
	s_add_nc_u64 s[0:1], s[0:1], s[10:11]
	s_ashr_i32 s4, s9, 2
	s_add_nc_u64 s[0:1], s[0:1], s[2:3]
	s_wait_alu 0xfffe
	s_ashr_i32 s5, s4, 31
	v_add_co_u32 v7, s0, s0, v6
	s_wait_alu 0xf1ff
	v_add_co_ci_u32_e64 v8, null, s1, 0, s0
	s_and_b32 s0, s16, exec_lo
	s_cselect_b32 s1, s7, 0
	s_cselect_b32 s0, s6, 32
	s_wait_alu 0xfffe
	s_lshl_b64 s[2:3], s[4:5], 2
.LBB15_44:                              ; =>This Inner Loop Header: Depth=1
	s_wait_loadcnt_dscnt 0x0
	v_fma_f32 v13, v1, v5, 0
	ds_load_2addr_b32 v[5:6], v0 offset0:1 offset1:2
	ds_load_2addr_b32 v[11:12], v0 offset0:3 offset1:4
	v_add_nc_u32_e32 v0, 4, v0
	s_add_nc_u64 s[0:1], s[0:1], -1
	s_wait_alu 0xfffe
	s_cmp_lg_u64 s[0:1], 0
	s_wait_dscnt 0x1
	v_fmac_f32_e32 v13, v2, v5
	s_delay_alu instid0(VALU_DEP_1) | instskip(SKIP_1) | instid1(VALU_DEP_1)
	v_fmac_f32_e32 v13, v3, v6
	s_wait_dscnt 0x0
	v_fmac_f32_e32 v13, v4, v11
	s_delay_alu instid0(VALU_DEP_1) | instskip(NEXT) | instid1(VALU_DEP_1)
	v_fmac_f32_e32 v13, v9, v12
	v_add_f32_e32 v6, v10, v13
	global_store_b32 v[7:8], v6, off
	v_add_co_u32 v7, vcc_lo, v7, s2
	s_wait_alu 0xfffd
	v_add_co_ci_u32_e64 v8, null, s3, v8, vcc_lo
	s_cbranch_scc1 .LBB15_44
.LBB15_45:
	s_endpgm
	.section	.rodata,"a",@progbits
	.p2align	6, 0x0
	.amdhsa_kernel _ZL23ssm_conv_long_token_f32ILb0ELm128ELm5ELl32EEvPKfS1_S1_iiiiPfiiil
		.amdhsa_group_segment_fixed_size 0
		.amdhsa_private_segment_fixed_size 0
		.amdhsa_kernarg_size 72
		.amdhsa_user_sgpr_count 2
		.amdhsa_user_sgpr_dispatch_ptr 0
		.amdhsa_user_sgpr_queue_ptr 0
		.amdhsa_user_sgpr_kernarg_segment_ptr 1
		.amdhsa_user_sgpr_dispatch_id 0
		.amdhsa_user_sgpr_private_segment_size 0
		.amdhsa_wavefront_size32 1
		.amdhsa_uses_dynamic_stack 0
		.amdhsa_enable_private_segment 0
		.amdhsa_system_sgpr_workgroup_id_x 1
		.amdhsa_system_sgpr_workgroup_id_y 1
		.amdhsa_system_sgpr_workgroup_id_z 1
		.amdhsa_system_sgpr_workgroup_info 0
		.amdhsa_system_vgpr_workitem_id 0
		.amdhsa_next_free_vgpr 71
		.amdhsa_next_free_sgpr 18
		.amdhsa_reserve_vcc 1
		.amdhsa_float_round_mode_32 0
		.amdhsa_float_round_mode_16_64 0
		.amdhsa_float_denorm_mode_32 3
		.amdhsa_float_denorm_mode_16_64 3
		.amdhsa_fp16_overflow 0
		.amdhsa_workgroup_processor_mode 1
		.amdhsa_memory_ordered 1
		.amdhsa_forward_progress 1
		.amdhsa_inst_pref_size 54
		.amdhsa_round_robin_scheduling 0
		.amdhsa_exception_fp_ieee_invalid_op 0
		.amdhsa_exception_fp_denorm_src 0
		.amdhsa_exception_fp_ieee_div_zero 0
		.amdhsa_exception_fp_ieee_overflow 0
		.amdhsa_exception_fp_ieee_underflow 0
		.amdhsa_exception_fp_ieee_inexact 0
		.amdhsa_exception_int_div_zero 0
	.end_amdhsa_kernel
	.section	.text._ZL23ssm_conv_long_token_f32ILb0ELm128ELm5ELl32EEvPKfS1_S1_iiiiPfiiil,"axG",@progbits,_ZL23ssm_conv_long_token_f32ILb0ELm128ELm5ELl32EEvPKfS1_S1_iiiiPfiiil,comdat
.Lfunc_end15:
	.size	_ZL23ssm_conv_long_token_f32ILb0ELm128ELm5ELl32EEvPKfS1_S1_iiiiPfiiil, .Lfunc_end15-_ZL23ssm_conv_long_token_f32ILb0ELm128ELm5ELl32EEvPKfS1_S1_iiiiPfiiil
                                        ; -- End function
	.set _ZL23ssm_conv_long_token_f32ILb0ELm128ELm5ELl32EEvPKfS1_S1_iiiiPfiiil.num_vgpr, 71
	.set _ZL23ssm_conv_long_token_f32ILb0ELm128ELm5ELl32EEvPKfS1_S1_iiiiPfiiil.num_agpr, 0
	.set _ZL23ssm_conv_long_token_f32ILb0ELm128ELm5ELl32EEvPKfS1_S1_iiiiPfiiil.numbered_sgpr, 18
	.set _ZL23ssm_conv_long_token_f32ILb0ELm128ELm5ELl32EEvPKfS1_S1_iiiiPfiiil.num_named_barrier, 0
	.set _ZL23ssm_conv_long_token_f32ILb0ELm128ELm5ELl32EEvPKfS1_S1_iiiiPfiiil.private_seg_size, 0
	.set _ZL23ssm_conv_long_token_f32ILb0ELm128ELm5ELl32EEvPKfS1_S1_iiiiPfiiil.uses_vcc, 1
	.set _ZL23ssm_conv_long_token_f32ILb0ELm128ELm5ELl32EEvPKfS1_S1_iiiiPfiiil.uses_flat_scratch, 0
	.set _ZL23ssm_conv_long_token_f32ILb0ELm128ELm5ELl32EEvPKfS1_S1_iiiiPfiiil.has_dyn_sized_stack, 0
	.set _ZL23ssm_conv_long_token_f32ILb0ELm128ELm5ELl32EEvPKfS1_S1_iiiiPfiiil.has_recursion, 0
	.set _ZL23ssm_conv_long_token_f32ILb0ELm128ELm5ELl32EEvPKfS1_S1_iiiiPfiiil.has_indirect_call, 0
	.section	.AMDGPU.csdata,"",@progbits
; Kernel info:
; codeLenInByte = 6844
; TotalNumSgprs: 20
; NumVgprs: 71
; ScratchSize: 0
; MemoryBound: 0
; FloatMode: 240
; IeeeMode: 1
; LDSByteSize: 0 bytes/workgroup (compile time only)
; SGPRBlocks: 0
; VGPRBlocks: 8
; NumSGPRsForWavesPerEU: 20
; NumVGPRsForWavesPerEU: 71
; Occupancy: 16
; WaveLimiterHint : 0
; COMPUTE_PGM_RSRC2:SCRATCH_EN: 0
; COMPUTE_PGM_RSRC2:USER_SGPR: 2
; COMPUTE_PGM_RSRC2:TRAP_HANDLER: 0
; COMPUTE_PGM_RSRC2:TGID_X_EN: 1
; COMPUTE_PGM_RSRC2:TGID_Y_EN: 1
; COMPUTE_PGM_RSRC2:TGID_Z_EN: 1
; COMPUTE_PGM_RSRC2:TIDIG_COMP_CNT: 0
	.section	.text._ZL12ssm_conv_f32ILb0ELm128ELm9EEvPKfS1_S1_iiiiPfiiil,"axG",@progbits,_ZL12ssm_conv_f32ILb0ELm128ELm9EEvPKfS1_S1_iiiiPfiiil,comdat
	.globl	_ZL12ssm_conv_f32ILb0ELm128ELm9EEvPKfS1_S1_iiiiPfiiil ; -- Begin function _ZL12ssm_conv_f32ILb0ELm128ELm9EEvPKfS1_S1_iiiiPfiiil
	.p2align	8
	.type	_ZL12ssm_conv_f32ILb0ELm128ELm9EEvPKfS1_S1_iiiiPfiiil,@function
_ZL12ssm_conv_f32ILb0ELm128ELm9EEvPKfS1_S1_iiiiPfiiil: ; @_ZL12ssm_conv_f32ILb0ELm128ELm9EEvPKfS1_S1_iiiiPfiiil
; %bb.0:
	s_load_b64 s[2:3], s[0:1], 0x10
	s_mov_b32 s4, ttmp7
	s_ashr_i32 s5, ttmp7, 31
	v_lshlrev_b32_e32 v19, 2, v0
	s_lshl_b64 s[12:13], s[4:5], 7
	s_wait_kmcnt 0x0
	s_cmp_eq_u64 s[2:3], 0
	s_cbranch_scc1 .LBB16_2
; %bb.1:
	s_lshl_b64 s[4:5], s[12:13], 2
	s_delay_alu instid0(SALU_CYCLE_1)
	s_add_nc_u64 s[2:3], s[2:3], s[4:5]
	global_load_b32 v21, v19, s[2:3]
	s_load_b64 s[2:3], s[0:1], 0x40
	s_wait_kmcnt 0x0
	v_cmp_lt_i64_e64 s4, s[2:3], 1
	s_and_b32 vcc_lo, exec_lo, s4
	s_cbranch_vccz .LBB16_3
	s_branch .LBB16_6
.LBB16_2:
	v_mov_b32_e32 v21, 0
	s_load_b64 s[2:3], s[0:1], 0x40
	s_wait_kmcnt 0x0
	v_cmp_lt_i64_e64 s4, s[2:3], 1
	s_and_b32 vcc_lo, exec_lo, s4
	s_cbranch_vccnz .LBB16_6
.LBB16_3:
	s_clause 0x1
	s_load_b96 s[8:10], s[0:1], 0x1c
	s_load_b128 s[4:7], s[0:1], 0x0
	s_wait_kmcnt 0x0
	s_ashr_i32 s11, s8, 2
	s_ashr_i32 s14, s10, 2
	v_mul_lo_u32 v1, s11, v0
	v_mul_lo_u32 v3, s14, v0
	s_mul_i32 s14, s9, ttmp9
	s_ashr_i32 s9, s8, 31
	s_wait_alu 0xfffe
	s_ashr_i32 s15, s14, 31
	s_ashr_i32 s11, s10, 31
	s_mul_u64 s[8:9], s[12:13], s[8:9]
	s_wait_alu 0xfffe
	s_add_nc_u64 s[4:5], s[4:5], s[14:15]
	v_ashrrev_i32_e32 v2, 31, v1
	v_ashrrev_i32_e32 v4, 31, v3
	s_mul_u64 s[10:11], s[12:13], s[10:11]
	s_add_nc_u64 s[4:5], s[4:5], s[8:9]
	s_wait_alu 0xfffe
	s_add_nc_u64 s[6:7], s[6:7], s[10:11]
	v_lshlrev_b64_e32 v[0:1], 2, v[1:2]
	v_lshlrev_b64_e32 v[2:3], 2, v[3:4]
	s_delay_alu instid0(VALU_DEP_2) | instskip(NEXT) | instid1(VALU_DEP_1)
	v_add_co_u32 v17, vcc_lo, s4, v0
	v_add_co_ci_u32_e64 v18, null, s5, v1, vcc_lo
	s_delay_alu instid0(VALU_DEP_3) | instskip(SKIP_1) | instid1(VALU_DEP_4)
	v_add_co_u32 v22, vcc_lo, s6, v2
	s_wait_alu 0xfffd
	v_add_co_ci_u32_e64 v23, null, s7, v3, vcc_lo
	global_load_b128 v[0:3], v[17:18], off
	s_clause 0x1
	global_load_b128 v[9:12], v[22:23], off
	global_load_b128 v[13:16], v[22:23], off offset:16
	global_load_b128 v[4:7], v[17:18], off offset:16
	global_load_b32 v22, v[22:23], off offset:32
	global_load_b32 v8, v[17:18], off offset:32
	s_clause 0x1
	s_load_b96 s[4:6], s[0:1], 0x30
	s_load_b64 s[0:1], s[0:1], 0x28
	s_wait_kmcnt 0x0
	s_mul_i32 s6, s6, ttmp9
	s_ashr_i32 s9, s4, 31
	s_wait_alu 0xfffe
	s_ashr_i32 s7, s6, 31
	s_mov_b32 s8, s4
	s_wait_alu 0xfffe
	s_add_nc_u64 s[6:7], s[0:1], s[6:7]
	s_mul_u64 s[8:9], s[12:13], s[8:9]
	s_cmp_eq_u64 s[2:3], 1
	s_wait_alu 0xfffe
	s_add_nc_u64 s[0:1], s[6:7], s[8:9]
	s_wait_loadcnt 0x4
	v_fma_f32 v20, v9, v0, 0
	s_delay_alu instid0(VALU_DEP_1) | instskip(NEXT) | instid1(VALU_DEP_1)
	v_fmac_f32_e32 v20, v10, v1
	v_fmac_f32_e32 v20, v11, v2
	s_delay_alu instid0(VALU_DEP_1) | instskip(SKIP_1) | instid1(VALU_DEP_1)
	v_fmac_f32_e32 v20, v12, v3
	s_wait_loadcnt 0x2
	v_fmac_f32_e32 v20, v13, v4
	s_delay_alu instid0(VALU_DEP_1) | instskip(NEXT) | instid1(VALU_DEP_1)
	v_fmac_f32_e32 v20, v14, v5
	v_fmac_f32_e32 v20, v15, v6
	s_delay_alu instid0(VALU_DEP_1) | instskip(SKIP_1) | instid1(VALU_DEP_1)
	v_fmac_f32_e32 v20, v16, v7
	s_wait_loadcnt 0x0
	v_fmac_f32_e32 v20, v22, v8
	s_delay_alu instid0(VALU_DEP_1)
	v_add_f32_e32 v20, v21, v20
	global_store_b32 v19, v20, s[0:1]
	s_cbranch_scc1 .LBB16_6
; %bb.4:
	s_ashr_i32 s0, s5, 2
	v_add_co_u32 v17, vcc_lo, v17, 36
	s_ashr_i32 s1, s0, 31
	s_wait_alu 0xfffd
	v_add_co_ci_u32_e64 v18, null, 0, v18, vcc_lo
	s_lshl_b64 s[0:1], s[0:1], 2
	s_add_nc_u64 s[2:3], s[2:3], -1
	s_add_nc_u64 s[4:5], s[8:9], s[0:1]
	s_mov_b64 s[8:9], 9
	s_wait_alu 0xfffe
	s_add_nc_u64 s[4:5], s[6:7], s[4:5]
	s_mov_b64 s[6:7], 0
	s_wait_alu 0xfffe
	v_add_co_u32 v19, s4, s4, v19
	s_wait_alu 0xf1ff
	v_add_co_ci_u32_e64 v20, null, s5, 0, s4
	s_mov_b64 s[4:5], 1
	s_mov_b64 s[10:11], 8
	;; [unrolled: 1-line block ×10, first 2 shown]
	s_mov_b32 s29, 0
.LBB16_5:                               ; =>This Inner Loop Header: Depth=1
	global_load_b32 v23, v[17:18], off
	s_wait_alu 0xfffe
	s_mov_b32 s84, s4
	s_mov_b32 s85, s29
	;; [unrolled: 1-line block ×8, first 2 shown]
	s_mul_u64 s[96:97], s[84:85], s[18:19]
	s_mov_b32 s60, s14
	s_mov_b32 s61, s29
	;; [unrolled: 1-line block ×6, first 2 shown]
	s_mul_u64 s[98:99], s[86:87], s[18:19]
	s_mul_u64 s[100:101], s[80:81], s[18:19]
	s_mov_b32 s90, s97
	s_mul_u64 s[96:97], s[72:73], s[18:19]
	s_mov_b32 s28, s5
	s_mov_b32 s78, s24
	;; [unrolled: 1-line block ×4, first 2 shown]
	s_mul_u64 s[98:99], s[60:61], s[18:19]
	s_mov_b32 s94, s101
	s_mul_u64 s[100:101], s[66:67], s[18:19]
	s_mov_b32 s88, s97
	;; [unrolled: 2-line block ×3, first 2 shown]
	s_mov_b32 s82, s99
	s_mul_u64 s[98:99], s[78:79], s[18:19]
	s_mov_b32 s76, s101
	s_mul_u64 s[100:101], s[28:29], s[18:19]
	;; [unrolled: 2-line block ×3, first 2 shown]
	s_mov_b32 s28, s9
	s_mov_b32 s93, s29
	;; [unrolled: 1-line block ×3, first 2 shown]
	s_mul_u64 s[98:99], s[28:29], s[18:19]
	s_add_nc_u64 s[90:91], s[100:101], s[90:91]
	s_mul_u64 s[100:101], s[28:29], s[20:21]
	s_mov_b32 s28, s11
	s_mov_b32 s95, s29
	s_add_nc_u64 s[92:93], s[98:99], s[92:93]
	s_mul_u64 s[98:99], s[28:29], s[18:19]
	s_mul_u64 s[84:85], s[84:85], s[20:21]
	s_mov_b32 s62, s91
	s_mov_b32 s91, s29
	s_add_nc_u64 s[94:95], s[98:99], s[94:95]
	s_mul_u64 s[86:87], s[86:87], s[20:21]
	s_add_nc_u64 s[84:85], s[84:85], s[90:91]
	s_mul_u64 s[90:91], s[28:29], s[20:21]
	s_mov_b32 s28, s13
	s_mov_b32 s68, s93
	s_mov_b32 s93, s29
	s_mov_b32 s89, s29
	s_add_nc_u64 s[86:87], s[86:87], s[92:93]
	s_mul_u64 s[92:93], s[28:29], s[18:19]
	s_mul_u64 s[80:81], s[80:81], s[20:21]
	s_mov_b32 s54, s95
	s_mov_b32 s95, s29
	;; [unrolled: 1-line block ×4, first 2 shown]
	s_add_nc_u64 s[88:89], s[92:93], s[88:89]
	s_mov_b32 s70, s87
	s_mul_u64 s[86:87], s[28:29], s[20:21]
	s_mov_b32 s28, s15
	s_add_nc_u64 s[80:81], s[80:81], s[94:95]
	s_mov_b32 s83, s29
	s_mul_u64 s[94:95], s[28:29], s[18:19]
	s_add_nc_u64 s[68:69], s[68:69], s[70:71]
	s_mul_u64 s[72:73], s[72:73], s[20:21]
	s_mov_b32 s56, s81
	s_mul_u64 s[80:81], s[28:29], s[20:21]
	s_mov_b32 s28, s17
	s_mov_b32 s48, s89
	;; [unrolled: 1-line block ×6, first 2 shown]
	s_add_nc_u64 s[82:83], s[94:95], s[82:83]
	s_add_nc_u64 s[72:73], s[72:73], s[88:89]
	s_mul_u64 s[88:89], s[28:29], s[18:19]
	s_add_nc_u64 s[68:69], s[100:101], s[68:69]
	s_mul_u64 s[100:101], s[28:29], s[20:21]
	s_mov_b32 s28, s23
	s_mov_b32 s63, s29
	;; [unrolled: 1-line block ×7, first 2 shown]
	s_add_nc_u64 s[76:77], s[88:89], s[76:77]
	s_mul_u64 s[60:61], s[60:61], s[20:21]
	s_add_nc_u64 s[54:55], s[54:55], s[56:57]
	s_mul_u64 s[56:57], s[28:29], s[18:19]
	s_mov_b32 s50, s73
	s_mul_u64 s[72:73], s[28:29], s[20:21]
	s_mov_b32 s28, s25
	s_mov_b32 s44, s83
	;; [unrolled: 1-line block ×6, first 2 shown]
	s_mul_u64 s[92:93], s[98:99], s[18:19]
	s_add_nc_u64 s[62:63], s[62:63], s[64:65]
	s_mov_b32 s64, s6
	s_mul_u64 s[66:67], s[66:67], s[20:21]
	s_add_nc_u64 s[60:61], s[60:61], s[82:83]
	s_mul_u64 s[82:83], s[28:29], s[18:19]
	s_add_nc_u64 s[56:57], s[56:57], s[58:59]
	s_mul_u64 s[58:59], s[28:29], s[20:21]
	s_mov_b32 s28, s27
	s_mov_b32 s40, s77
	;; [unrolled: 1-line block ×7, first 2 shown]
	s_mul_u64 s[70:71], s[64:65], s[18:19]
	s_mul_u64 s[74:75], s[74:75], s[20:21]
	s_add_nc_u64 s[54:55], s[90:91], s[54:55]
	s_mul_u64 s[90:91], s[28:29], s[18:19]
	s_add_nc_u64 s[48:49], s[48:49], s[50:51]
	s_mul_u64 s[50:51], s[28:29], s[20:21]
	s_mov_b32 s28, s7
	s_mov_b32 s46, s61
	s_add_nc_u64 s[66:67], s[66:67], s[76:77]
	s_mov_b32 s36, s57
	s_mov_b32 s57, s29
	s_add_nc_u64 s[52:53], s[82:83], s[52:53]
	s_mov_b32 s41, s29
	s_mov_b32 s43, s29
	s_mov_b32 s70, s71
	s_mov_b32 s71, s29
	s_mul_u64 s[78:79], s[78:79], s[20:21]
	s_mul_u64 s[60:61], s[28:29], s[18:19]
	s_add_nc_u64 s[44:45], s[44:45], s[46:47]
	s_mov_b32 s42, s67
	s_add_nc_u64 s[46:47], s[74:75], s[56:57]
	s_mov_b32 s30, s53
	s_mov_b32 s53, s29
	s_add_nc_u64 s[56:57], s[90:91], s[92:93]
	s_mov_b32 s37, s29
	s_mov_b32 s39, s29
	s_mul_u64 s[98:99], s[98:99], s[20:21]
	s_add_nc_u64 s[40:41], s[40:41], s[42:43]
	s_mov_b32 s38, s47
	s_add_nc_u64 s[42:43], s[78:79], s[52:53]
	s_mov_b32 s84, s57
	s_mov_b32 s57, s29
	s_add_nc_u64 s[46:47], s[60:61], s[70:71]
	s_mov_b32 s31, s29
	s_mov_b32 s35, s29
	s_mul_u64 s[64:65], s[64:65], s[20:21]
	s_add_nc_u64 s[48:49], s[86:87], s[48:49]
	s_add_nc_u64 s[44:45], s[80:81], s[44:45]
	;; [unrolled: 1-line block ×3, first 2 shown]
	s_mov_b32 s34, s43
	s_add_nc_u64 s[38:39], s[98:99], s[56:57]
	s_mov_b32 s88, s47
	s_mov_b32 s47, s29
	;; [unrolled: 1-line block ×4, first 2 shown]
	s_lshr_b64 s[48:49], s[48:49], 3
	s_lshr_b64 s[44:45], s[44:45], 3
	s_add_nc_u64 s[36:37], s[72:73], s[36:37]
	s_add_nc_u64 s[30:31], s[30:31], s[34:35]
	s_mov_b32 s94, s39
	s_add_nc_u64 s[34:35], s[64:65], s[46:47]
	s_add_nc_u64 s[40:41], s[100:101], s[40:41]
	s_mov_b32 s89, s29
	s_add_nc_u64 s[62:63], s[96:97], s[62:63]
	s_mov_b32 s97, s29
	s_mul_i32 s42, s48, 9
	s_mul_i32 s44, s44, 9
	s_lshr_b64 s[36:37], s[36:37], 3
	s_add_nc_u64 s[30:31], s[58:59], s[30:31]
	s_add_nc_u64 s[38:39], s[84:85], s[94:95]
	s_mov_b32 s96, s35
	s_lshr_b64 s[40:41], s[40:41], 3
	s_mul_u64 s[76:77], s[28:29], s[20:21]
	s_sub_co_i32 s41, s6, s42
	s_sub_co_i32 s42, s6, s44
	s_mul_i32 s44, s36, 9
	s_lshr_b64 s[30:31], s[30:31], 3
	s_add_nc_u64 s[34:35], s[50:51], s[38:39]
	s_add_nc_u64 s[36:37], s[88:89], s[96:97]
	s_mul_i32 s39, s30, 9
	s_lshr_b64 s[30:31], s[34:35], 3
	s_add_nc_u64 s[34:35], s[76:77], s[36:37]
	s_lshr_b64 s[62:63], s[62:63], 3
	s_mul_i32 s37, s30, 9
	s_lshr_b64 s[30:31], s[34:35], 3
	s_mul_i32 s28, s62, 9
	s_mul_i32 s30, s30, -9
	s_sub_co_i32 s28, s6, s28
	s_add_co_i32 m0, s6, s30
	s_sub_co_i32 s34, s6, s37
	s_sub_co_i32 s31, s6, s39
	s_sub_co_i32 s36, s6, s44
	s_mul_i32 s40, s40, 9
	s_lshr_b64 s[54:55], s[54:55], 3
	s_sub_co_i32 s38, s6, s40
	s_mul_i32 s54, s54, 9
	s_lshr_b64 s[68:69], s[68:69], 3
	s_sub_co_i32 s43, s6, s54
	s_mul_i32 s33, s68, 9
	v_add_co_u32 v17, vcc_lo, v17, 4
	s_sub_co_i32 s33, s6, s33
	s_wait_alu 0xfffd
	v_add_co_ci_u32_e64 v18, null, 0, v18, vcc_lo
	s_add_nc_u64 s[6:7], s[6:7], 1
	s_add_nc_u64 s[4:5], s[4:5], 1
	s_add_nc_u64 s[8:9], s[8:9], 1
	s_add_nc_u64 s[10:11], s[10:11], 1
	s_add_nc_u64 s[12:13], s[12:13], 1
	s_add_nc_u64 s[14:15], s[14:15], 1
	s_add_nc_u64 s[16:17], s[16:17], 1
	s_add_nc_u64 s[22:23], s[22:23], 1
	s_add_nc_u64 s[24:25], s[24:25], 1
	s_add_nc_u64 s[26:27], s[26:27], 1
	s_wait_loadcnt 0x0
	v_movreld_b32_e32 v0, v23
	s_add_co_i32 m0, s28, 1
	v_movrels_b32_e32 v23, v0
	s_add_co_i32 m0, s34, 2
	v_movrels_b32_e32 v24, v0
	s_add_co_i32 m0, s31, 3
	s_delay_alu instid0(VALU_DEP_2) | instskip(SKIP_3) | instid1(VALU_DEP_3)
	v_fma_f32 v23, v9, v23, 0
	v_movrels_b32_e32 v25, v0
	s_add_co_i32 m0, s36, 4
	v_movrels_b32_e32 v26, v0
	v_fmac_f32_e32 v23, v10, v24
	s_add_co_i32 m0, s38, 5
	v_movrels_b32_e32 v27, v0
	s_add_co_i32 m0, s42, 6
	s_delay_alu instid0(VALU_DEP_2) | instskip(SKIP_3) | instid1(VALU_DEP_3)
	v_fmac_f32_e32 v23, v11, v25
	v_movrels_b32_e32 v28, v0
	s_add_co_i32 m0, s41, 7
	v_movrels_b32_e32 v24, v0
	v_fmac_f32_e32 v23, v12, v26
	s_add_co_i32 m0, s43, 8
	v_movrels_b32_e32 v29, v0
	s_add_co_i32 m0, s33, 9
	s_delay_alu instid0(VALU_DEP_2) | instskip(SKIP_3) | instid1(VALU_DEP_2)
	v_fmac_f32_e32 v23, v13, v27
	v_movrels_b32_e32 v25, v0
	s_wait_alu 0xfffe
	s_cmp_eq_u64 s[2:3], s[6:7]
	v_fmac_f32_e32 v23, v14, v28
	s_delay_alu instid0(VALU_DEP_1) | instskip(NEXT) | instid1(VALU_DEP_1)
	v_fmac_f32_e32 v23, v15, v24
	v_fmac_f32_e32 v23, v16, v29
	s_delay_alu instid0(VALU_DEP_1) | instskip(NEXT) | instid1(VALU_DEP_1)
	v_fmac_f32_e32 v23, v22, v25
	v_add_f32_e32 v23, v21, v23
	global_store_b32 v[19:20], v23, off
	v_add_co_u32 v19, vcc_lo, v19, s0
	s_wait_alu 0xfffd
	v_add_co_ci_u32_e64 v20, null, s1, v20, vcc_lo
	s_cbranch_scc0 .LBB16_5
.LBB16_6:
	s_endpgm
	.section	.rodata,"a",@progbits
	.p2align	6, 0x0
	.amdhsa_kernel _ZL12ssm_conv_f32ILb0ELm128ELm9EEvPKfS1_S1_iiiiPfiiil
		.amdhsa_group_segment_fixed_size 0
		.amdhsa_private_segment_fixed_size 0
		.amdhsa_kernarg_size 72
		.amdhsa_user_sgpr_count 2
		.amdhsa_user_sgpr_dispatch_ptr 0
		.amdhsa_user_sgpr_queue_ptr 0
		.amdhsa_user_sgpr_kernarg_segment_ptr 1
		.amdhsa_user_sgpr_dispatch_id 0
		.amdhsa_user_sgpr_private_segment_size 0
		.amdhsa_wavefront_size32 1
		.amdhsa_uses_dynamic_stack 0
		.amdhsa_enable_private_segment 0
		.amdhsa_system_sgpr_workgroup_id_x 1
		.amdhsa_system_sgpr_workgroup_id_y 1
		.amdhsa_system_sgpr_workgroup_id_z 0
		.amdhsa_system_sgpr_workgroup_info 0
		.amdhsa_system_vgpr_workitem_id 0
		.amdhsa_next_free_vgpr 30
		.amdhsa_next_free_sgpr 102
		.amdhsa_reserve_vcc 1
		.amdhsa_float_round_mode_32 0
		.amdhsa_float_round_mode_16_64 0
		.amdhsa_float_denorm_mode_32 3
		.amdhsa_float_denorm_mode_16_64 3
		.amdhsa_fp16_overflow 0
		.amdhsa_workgroup_processor_mode 1
		.amdhsa_memory_ordered 1
		.amdhsa_forward_progress 1
		.amdhsa_inst_pref_size 14
		.amdhsa_round_robin_scheduling 0
		.amdhsa_exception_fp_ieee_invalid_op 0
		.amdhsa_exception_fp_denorm_src 0
		.amdhsa_exception_fp_ieee_div_zero 0
		.amdhsa_exception_fp_ieee_overflow 0
		.amdhsa_exception_fp_ieee_underflow 0
		.amdhsa_exception_fp_ieee_inexact 0
		.amdhsa_exception_int_div_zero 0
	.end_amdhsa_kernel
	.section	.text._ZL12ssm_conv_f32ILb0ELm128ELm9EEvPKfS1_S1_iiiiPfiiil,"axG",@progbits,_ZL12ssm_conv_f32ILb0ELm128ELm9EEvPKfS1_S1_iiiiPfiiil,comdat
.Lfunc_end16:
	.size	_ZL12ssm_conv_f32ILb0ELm128ELm9EEvPKfS1_S1_iiiiPfiiil, .Lfunc_end16-_ZL12ssm_conv_f32ILb0ELm128ELm9EEvPKfS1_S1_iiiiPfiiil
                                        ; -- End function
	.set _ZL12ssm_conv_f32ILb0ELm128ELm9EEvPKfS1_S1_iiiiPfiiil.num_vgpr, 30
	.set _ZL12ssm_conv_f32ILb0ELm128ELm9EEvPKfS1_S1_iiiiPfiiil.num_agpr, 0
	.set _ZL12ssm_conv_f32ILb0ELm128ELm9EEvPKfS1_S1_iiiiPfiiil.numbered_sgpr, 102
	.set _ZL12ssm_conv_f32ILb0ELm128ELm9EEvPKfS1_S1_iiiiPfiiil.num_named_barrier, 0
	.set _ZL12ssm_conv_f32ILb0ELm128ELm9EEvPKfS1_S1_iiiiPfiiil.private_seg_size, 0
	.set _ZL12ssm_conv_f32ILb0ELm128ELm9EEvPKfS1_S1_iiiiPfiiil.uses_vcc, 1
	.set _ZL12ssm_conv_f32ILb0ELm128ELm9EEvPKfS1_S1_iiiiPfiiil.uses_flat_scratch, 0
	.set _ZL12ssm_conv_f32ILb0ELm128ELm9EEvPKfS1_S1_iiiiPfiiil.has_dyn_sized_stack, 0
	.set _ZL12ssm_conv_f32ILb0ELm128ELm9EEvPKfS1_S1_iiiiPfiiil.has_recursion, 0
	.set _ZL12ssm_conv_f32ILb0ELm128ELm9EEvPKfS1_S1_iiiiPfiiil.has_indirect_call, 0
	.section	.AMDGPU.csdata,"",@progbits
; Kernel info:
; codeLenInByte = 1752
; TotalNumSgprs: 104
; NumVgprs: 30
; ScratchSize: 0
; MemoryBound: 0
; FloatMode: 240
; IeeeMode: 1
; LDSByteSize: 0 bytes/workgroup (compile time only)
; SGPRBlocks: 0
; VGPRBlocks: 3
; NumSGPRsForWavesPerEU: 104
; NumVGPRsForWavesPerEU: 30
; Occupancy: 16
; WaveLimiterHint : 0
; COMPUTE_PGM_RSRC2:SCRATCH_EN: 0
; COMPUTE_PGM_RSRC2:USER_SGPR: 2
; COMPUTE_PGM_RSRC2:TRAP_HANDLER: 0
; COMPUTE_PGM_RSRC2:TGID_X_EN: 1
; COMPUTE_PGM_RSRC2:TGID_Y_EN: 1
; COMPUTE_PGM_RSRC2:TGID_Z_EN: 0
; COMPUTE_PGM_RSRC2:TIDIG_COMP_CNT: 0
	.section	.text._ZL23ssm_conv_long_token_f32ILb0ELm128ELm9ELl32EEvPKfS1_S1_iiiiPfiiil,"axG",@progbits,_ZL23ssm_conv_long_token_f32ILb0ELm128ELm9ELl32EEvPKfS1_S1_iiiiPfiiil,comdat
	.globl	_ZL23ssm_conv_long_token_f32ILb0ELm128ELm9ELl32EEvPKfS1_S1_iiiiPfiiil ; -- Begin function _ZL23ssm_conv_long_token_f32ILb0ELm128ELm9ELl32EEvPKfS1_S1_iiiiPfiiil
	.p2align	8
	.type	_ZL23ssm_conv_long_token_f32ILb0ELm128ELm9ELl32EEvPKfS1_S1_iiiiPfiiil,@function
_ZL23ssm_conv_long_token_f32ILb0ELm128ELm9ELl32EEvPKfS1_S1_iiiiPfiiil: ; @_ZL23ssm_conv_long_token_f32ILb0ELm128ELm9ELl32EEvPKfS1_S1_iiiiPfiiil
; %bb.0:
	v_mul_u32_u24_e32 v1, 0x667, v0
	s_clause 0x1
	s_load_b128 s[4:7], s[0:1], 0x18
	s_load_b64 s[8:9], s[0:1], 0x0
	s_lshr_b32 s10, ttmp7, 11
	s_and_b32 s2, ttmp7, 0xffff
	v_lshrrev_b32_e32 v13, 16, v1
	s_and_b32 s12, s10, 0x1fffe0
	s_mov_b32 s3, 0
	s_lshl_b32 s2, s2, 7
	s_mov_b32 s13, s3
	v_mul_lo_u16 v1, v13, 40
	s_delay_alu instid0(VALU_DEP_1) | instskip(NEXT) | instid1(VALU_DEP_1)
	v_sub_nc_u16 v5, v0, v1
	v_or_b32_e32 v1, 0x80, v5
	v_and_b32_e32 v15, 0xffff, v5
	s_wait_kmcnt 0x0
	s_mul_i32 s10, s6, ttmp9
	s_ashr_i32 s6, s5, 2
	s_ashr_i32 s15, s5, 31
	v_mul_lo_u16 v2, 0xcd, v1
	s_mov_b32 s14, s5
	s_ashr_i32 s11, s10, 31
	s_ashr_i32 s17, s4, 31
	s_mov_b32 s16, s4
	v_lshrrev_b16 v8, 13, v2
	s_mul_u64 s[4:5], s[2:3], s[14:15]
	s_add_nc_u64 s[8:9], s[8:9], s[10:11]
	s_mul_u64 s[14:15], s[12:13], s[16:17]
	s_add_nc_u64 s[4:5], s[8:9], s[4:5]
	v_mul_lo_u16 v2, v8, 40
	v_and_b32_e32 v8, 0xffff, v8
	s_add_nc_u64 s[4:5], s[4:5], s[14:15]
	s_mov_b32 s8, exec_lo
	s_delay_alu instid0(VALU_DEP_2) | instskip(NEXT) | instid1(VALU_DEP_2)
	v_sub_nc_u16 v1, v1, v2
	v_add_nc_u32_e32 v19, v13, v8
	s_delay_alu instid0(VALU_DEP_2) | instskip(NEXT) | instid1(VALU_DEP_2)
	v_and_b32_e32 v14, 0xff, v1
	v_mul_u32_u24_e32 v25, 0xa0, v19
	s_delay_alu instid0(VALU_DEP_2) | instskip(NEXT) | instid1(VALU_DEP_1)
	v_or_b32_e32 v1, 0x80, v14
	v_mul_lo_u16 v2, 0xcd, v1
	s_delay_alu instid0(VALU_DEP_1) | instskip(NEXT) | instid1(VALU_DEP_1)
	v_lshrrev_b16 v10, 13, v2
	v_mul_lo_u16 v2, v10, 40
	v_and_b32_e32 v10, 0xffff, v10
	s_delay_alu instid0(VALU_DEP_2) | instskip(NEXT) | instid1(VALU_DEP_2)
	v_sub_nc_u16 v1, v1, v2
	v_add_nc_u32_e32 v21, v19, v10
	s_delay_alu instid0(VALU_DEP_2) | instskip(NEXT) | instid1(VALU_DEP_2)
	v_and_b32_e32 v17, 0xff, v1
	v_mul_u32_u24_e32 v27, 0xa0, v21
	s_delay_alu instid0(VALU_DEP_2) | instskip(SKIP_1) | instid1(VALU_DEP_2)
	v_or_b32_e32 v1, 0x80, v17
	v_lshlrev_b32_e32 v30, 2, v17
	v_mul_lo_u16 v2, 0xcd, v1
	s_delay_alu instid0(VALU_DEP_2) | instskip(NEXT) | instid1(VALU_DEP_2)
	v_add3_u32 v43, 0, v27, v30
	v_lshrrev_b16 v16, 13, v2
	s_delay_alu instid0(VALU_DEP_1) | instskip(NEXT) | instid1(VALU_DEP_1)
	v_mul_lo_u16 v2, v16, 40
	v_sub_nc_u16 v1, v1, v2
	s_delay_alu instid0(VALU_DEP_1) | instskip(NEXT) | instid1(VALU_DEP_1)
	v_and_b32_e32 v1, 0xff, v1
	v_or_b32_e32 v2, 0x80, v1
	s_delay_alu instid0(VALU_DEP_1) | instskip(NEXT) | instid1(VALU_DEP_1)
	v_mul_lo_u16 v3, 0xcd, v2
	v_lshrrev_b16 v18, 13, v3
	s_delay_alu instid0(VALU_DEP_1) | instskip(NEXT) | instid1(VALU_DEP_1)
	v_mul_lo_u16 v3, v18, 40
	v_sub_nc_u16 v2, v2, v3
	s_delay_alu instid0(VALU_DEP_1) | instskip(NEXT) | instid1(VALU_DEP_1)
	v_and_b32_e32 v2, 0xff, v2
	v_or_b32_e32 v3, 0x80, v2
	s_delay_alu instid0(VALU_DEP_1) | instskip(NEXT) | instid1(VALU_DEP_1)
	v_mul_lo_u16 v4, 0xcd, v3
	v_lshrrev_b16 v20, 13, v4
	s_delay_alu instid0(VALU_DEP_1) | instskip(SKIP_1) | instid1(VALU_DEP_2)
	v_mul_lo_u16 v4, v20, 40
	v_and_b32_e32 v20, 0xffff, v20
	v_sub_nc_u16 v3, v3, v4
	s_delay_alu instid0(VALU_DEP_1) | instskip(NEXT) | instid1(VALU_DEP_1)
	v_and_b32_e32 v3, 0xff, v3
	v_or_b32_e32 v4, 0x80, v3
	s_delay_alu instid0(VALU_DEP_1) | instskip(NEXT) | instid1(VALU_DEP_1)
	v_mul_lo_u16 v6, 0xcd, v4
	v_lshrrev_b16 v24, 13, v6
	s_delay_alu instid0(VALU_DEP_1) | instskip(NEXT) | instid1(VALU_DEP_1)
	v_mul_lo_u16 v6, v24, 40
	v_sub_nc_u16 v4, v4, v6
	s_delay_alu instid0(VALU_DEP_1) | instskip(NEXT) | instid1(VALU_DEP_1)
	v_and_b32_e32 v4, 0xff, v4
	v_or_b32_e32 v6, 0x80, v4
	s_delay_alu instid0(VALU_DEP_1) | instskip(NEXT) | instid1(VALU_DEP_1)
	v_mul_lo_u16 v7, 0xcd, v6
	v_lshrrev_b16 v26, 13, v7
	s_delay_alu instid0(VALU_DEP_1) | instskip(NEXT) | instid1(VALU_DEP_1)
	v_mul_lo_u16 v7, v26, 40
	v_sub_nc_u16 v6, v6, v7
	s_delay_alu instid0(VALU_DEP_1) | instskip(SKIP_3) | instid1(VALU_DEP_4)
	v_and_b32_e32 v5, 0xff, v6
	v_mad_co_u64_u32 v[6:7], null, s6, v13, v[15:16]
	v_mul_u32_u24_e32 v13, 0xa0, v13
	v_and_b32_e32 v16, 0xffff, v16
	v_or_b32_e32 v11, 0x80, v5
	s_delay_alu instid0(VALU_DEP_4) | instskip(NEXT) | instid1(VALU_DEP_2)
	v_ashrrev_i32_e32 v7, 31, v6
	v_mul_lo_u16 v9, 0xcd, v11
	s_delay_alu instid0(VALU_DEP_2) | instskip(NEXT) | instid1(VALU_DEP_2)
	v_lshlrev_b64_e32 v[6:7], 2, v[6:7]
	v_lshrrev_b16 v28, 13, v9
	v_mad_co_u64_u32 v[8:9], null, v19, s6, v[14:15]
	v_lshlrev_b32_e32 v15, 2, v15
	v_lshlrev_b32_e32 v14, 2, v14
	s_delay_alu instid0(VALU_DEP_4) | instskip(SKIP_1) | instid1(VALU_DEP_1)
	v_mul_lo_u16 v9, v28, 40
	v_add_co_u32 v6, vcc_lo, s4, v6
	v_add_co_ci_u32_e64 v7, null, s5, v7, vcc_lo
	s_delay_alu instid0(VALU_DEP_3)
	v_sub_nc_u16 v11, v11, v9
	v_ashrrev_i32_e32 v9, 31, v8
	v_add3_u32 v41, 0, v13, v15
	global_load_b32 v33, v[6:7], off
	v_add_nc_u32_e32 v15, v21, v16
	v_and_b32_e32 v6, 0xff, v11
	v_lshlrev_b64_e32 v[7:8], 2, v[8:9]
	v_mad_co_u64_u32 v[9:10], null, v21, s6, v[17:18]
	v_and_b32_e32 v16, 0xffff, v18
	s_delay_alu instid0(VALU_DEP_4)
	v_or_b32_e32 v11, 0x80, v6
	v_add3_u32 v42, 0, v25, v14
	v_add_co_u32 v7, vcc_lo, s4, v7
	s_wait_alu 0xfffd
	v_add_co_ci_u32_e64 v8, null, s5, v8, vcc_lo
	v_ashrrev_i32_e32 v10, 31, v9
	v_mul_lo_u16 v12, 0xcd, v11
	v_add_nc_u32_e32 v16, v15, v16
	global_load_b32 v34, v[7:8], off
	v_mad_co_u64_u32 v[18:19], null, v15, s6, v[1:2]
	v_lshlrev_b64_e32 v[7:8], 2, v[9:10]
	v_lshrrev_b16 v29, 13, v12
	v_add_nc_u32_e32 v17, v16, v20
	v_mad_co_u64_u32 v[20:21], null, v16, s6, v[2:3]
	v_and_b32_e32 v21, 0xffff, v24
	v_add_co_u32 v7, vcc_lo, s4, v7
	s_wait_alu 0xfffd
	v_add_co_ci_u32_e64 v8, null, s5, v8, vcc_lo
	v_mul_lo_u16 v9, v29, 40
	v_add_nc_u32_e32 v63, v17, v21
	v_and_b32_e32 v28, 0xffff, v28
	global_load_b32 v35, v[7:8], off
	v_ashrrev_i32_e32 v19, 31, v18
	v_sub_nc_u16 v9, v11, v9
	v_mad_co_u64_u32 v[24:25], null, v63, s6, v[4:5]
	v_ashrrev_i32_e32 v21, 31, v20
	v_and_b32_e32 v45, 0xffff, v29
	s_delay_alu instid0(VALU_DEP_4)
	v_and_b32_e32 v7, 0xff, v9
	v_lshlrev_b64_e32 v[18:19], 2, v[18:19]
	v_lshlrev_b32_e32 v1, 2, v1
	v_lshlrev_b64_e32 v[20:21], 2, v[20:21]
	v_lshlrev_b32_e32 v2, 2, v2
	v_or_b32_e32 v8, 0x80, v7
	v_add_co_u32 v18, vcc_lo, s4, v18
	s_wait_alu 0xfffd
	v_add_co_ci_u32_e64 v19, null, s5, v19, vcc_lo
	s_delay_alu instid0(VALU_DEP_3) | instskip(SKIP_3) | instid1(VALU_DEP_3)
	v_mul_lo_u16 v9, 0xcd, v8
	v_add_co_u32 v20, vcc_lo, s4, v20
	s_wait_alu 0xfffd
	v_add_co_ci_u32_e64 v21, null, s5, v21, vcc_lo
	v_lshrrev_b16 v32, 13, v9
	s_delay_alu instid0(VALU_DEP_1) | instskip(NEXT) | instid1(VALU_DEP_1)
	v_mul_lo_u16 v9, v32, 40
	v_sub_nc_u16 v8, v8, v9
	s_delay_alu instid0(VALU_DEP_1) | instskip(NEXT) | instid1(VALU_DEP_1)
	v_and_b32_e32 v8, 0xff, v8
	v_or_b32_e32 v9, 0x80, v8
	s_delay_alu instid0(VALU_DEP_1) | instskip(NEXT) | instid1(VALU_DEP_1)
	v_mul_lo_u16 v10, 0xcd, v9
	v_lshrrev_b16 v36, 13, v10
	s_delay_alu instid0(VALU_DEP_1) | instskip(NEXT) | instid1(VALU_DEP_1)
	v_mul_lo_u16 v10, v36, 40
	v_sub_nc_u16 v9, v9, v10
	s_delay_alu instid0(VALU_DEP_1) | instskip(NEXT) | instid1(VALU_DEP_1)
	v_and_b32_e32 v9, 0xff, v9
	v_or_b32_e32 v10, 0x80, v9
	s_delay_alu instid0(VALU_DEP_1) | instskip(NEXT) | instid1(VALU_DEP_1)
	v_mul_lo_u16 v11, 0xcd, v10
	v_lshrrev_b16 v37, 13, v11
	s_delay_alu instid0(VALU_DEP_1) | instskip(NEXT) | instid1(VALU_DEP_1)
	v_mul_lo_u16 v11, v37, 40
	v_sub_nc_u16 v10, v10, v11
	s_delay_alu instid0(VALU_DEP_1) | instskip(NEXT) | instid1(VALU_DEP_1)
	v_and_b32_e32 v10, 0xff, v10
	v_or_b32_e32 v11, 0x80, v10
	s_delay_alu instid0(VALU_DEP_1) | instskip(NEXT) | instid1(VALU_DEP_1)
	v_mul_lo_u16 v12, 0xcd, v11
	v_lshrrev_b16 v38, 13, v12
	s_delay_alu instid0(VALU_DEP_1) | instskip(NEXT) | instid1(VALU_DEP_1)
	v_mul_lo_u16 v12, v38, 40
	v_sub_nc_u16 v11, v11, v12
	s_delay_alu instid0(VALU_DEP_1) | instskip(NEXT) | instid1(VALU_DEP_1)
	v_and_b32_e32 v11, 0xff, v11
	v_or_b32_e32 v12, 0x80, v11
	s_delay_alu instid0(VALU_DEP_1) | instskip(NEXT) | instid1(VALU_DEP_1)
	v_mul_lo_u16 v22, 0xcd, v12
	v_lshrrev_b16 v39, 13, v22
	s_delay_alu instid0(VALU_DEP_1) | instskip(NEXT) | instid1(VALU_DEP_1)
	v_mul_lo_u16 v22, v39, 40
	v_sub_nc_u16 v12, v12, v22
	s_delay_alu instid0(VALU_DEP_1) | instskip(NEXT) | instid1(VALU_DEP_1)
	v_and_b32_e32 v12, 0xff, v12
	v_or_b32_e32 v22, 0x80, v12
	s_delay_alu instid0(VALU_DEP_1) | instskip(NEXT) | instid1(VALU_DEP_1)
	v_mul_lo_u16 v23, 0xcd, v22
	v_lshrrev_b16 v40, 13, v23
	s_delay_alu instid0(VALU_DEP_1) | instskip(NEXT) | instid1(VALU_DEP_1)
	v_mul_lo_u16 v13, v40, 40
	v_sub_nc_u16 v13, v22, v13
	v_mad_co_u64_u32 v[22:23], null, v17, s6, v[3:4]
	v_lshlrev_b32_e32 v3, 2, v3
	s_delay_alu instid0(VALU_DEP_3) | instskip(NEXT) | instid1(VALU_DEP_3)
	v_and_b32_e32 v13, 0xff, v13
	v_ashrrev_i32_e32 v23, 31, v22
	s_delay_alu instid0(VALU_DEP_2) | instskip(NEXT) | instid1(VALU_DEP_2)
	v_or_b32_e32 v31, 0x80, v13
	v_lshlrev_b64_e32 v[22:23], 2, v[22:23]
	s_delay_alu instid0(VALU_DEP_2) | instskip(NEXT) | instid1(VALU_DEP_1)
	v_mul_lo_u16 v14, 0xcd, v31
	v_lshrrev_b16 v44, 13, v14
	v_and_b32_e32 v14, 0xffff, v26
	s_delay_alu instid0(VALU_DEP_4) | instskip(SKIP_4) | instid1(VALU_DEP_2)
	v_add_co_u32 v22, vcc_lo, s4, v22
	s_wait_alu 0xfffd
	v_add_co_ci_u32_e64 v23, null, s5, v23, vcc_lo
	v_mul_lo_u16 v25, v44, 40
	v_add_nc_u32_e32 v64, v63, v14
	v_sub_nc_u16 v14, v31, v25
	s_delay_alu instid0(VALU_DEP_2) | instskip(SKIP_2) | instid1(VALU_DEP_4)
	v_mad_co_u64_u32 v[26:27], null, v64, s6, v[5:6]
	v_add_nc_u32_e32 v65, v64, v28
	v_ashrrev_i32_e32 v25, 31, v24
	v_and_b32_e32 v14, 0xff, v14
	s_delay_alu instid0(VALU_DEP_3) | instskip(NEXT) | instid1(VALU_DEP_2)
	v_mad_co_u64_u32 v[28:29], null, v65, s6, v[6:7]
	v_or_b32_e32 v30, 0x80, v14
	v_ashrrev_i32_e32 v27, 31, v26
	v_add_nc_u32_e32 v66, v65, v45
	v_lshlrev_b64_e32 v[24:25], 2, v[24:25]
	v_lshlrev_b32_e32 v6, 2, v6
	v_mul_lo_u16 v31, 0xcd, v30
	v_lshlrev_b64_e32 v[26:27], 2, v[26:27]
	s_delay_alu instid0(VALU_DEP_4) | instskip(NEXT) | instid1(VALU_DEP_3)
	v_add_co_u32 v24, vcc_lo, s4, v24
	v_lshrrev_b16 v46, 13, v31
	s_wait_alu 0xfffd
	v_add_co_ci_u32_e64 v25, null, s5, v25, vcc_lo
	s_delay_alu instid0(VALU_DEP_4) | instskip(NEXT) | instid1(VALU_DEP_3)
	v_add_co_u32 v26, vcc_lo, s4, v26
	v_mul_lo_u16 v29, v46, 40
	s_wait_alu 0xfffd
	v_add_co_ci_u32_e64 v27, null, s5, v27, vcc_lo
	s_clause 0x4
	global_load_b32 v67, v[18:19], off
	global_load_b32 v68, v[20:21], off
	;; [unrolled: 1-line block ×5, first 2 shown]
	v_sub_nc_u16 v45, v30, v29
	v_mad_co_u64_u32 v[30:31], null, v66, s6, v[7:8]
	v_and_b32_e32 v31, 0xffff, v32
	v_ashrrev_i32_e32 v29, 31, v28
	s_delay_alu instid0(VALU_DEP_4) | instskip(NEXT) | instid1(VALU_DEP_3)
	v_and_b32_e32 v32, 0xff, v45
	v_add_nc_u32_e32 v72, v66, v31
	s_delay_alu instid0(VALU_DEP_3) | instskip(NEXT) | instid1(VALU_DEP_3)
	v_lshlrev_b64_e32 v[18:19], 2, v[28:29]
	v_or_b32_e32 v26, 0x80, v32
	v_ashrrev_i32_e32 v31, 31, v30
	s_delay_alu instid0(VALU_DEP_4) | instskip(SKIP_1) | instid1(VALU_DEP_4)
	v_mad_co_u64_u32 v[20:21], null, v72, s6, v[8:9]
	v_and_b32_e32 v21, 0xffff, v36
	v_mul_lo_u16 v24, 0xcd, v26
	s_delay_alu instid0(VALU_DEP_4) | instskip(SKIP_1) | instid1(VALU_DEP_4)
	v_lshlrev_b64_e32 v[22:23], 2, v[30:31]
	v_add_co_u32 v18, vcc_lo, s4, v18
	v_add_nc_u32_e32 v73, v72, v21
	s_delay_alu instid0(VALU_DEP_4)
	v_lshrrev_b16 v45, 13, v24
	v_ashrrev_i32_e32 v21, 31, v20
	s_wait_alu 0xfffd
	v_add_co_ci_u32_e64 v19, null, s5, v19, vcc_lo
	v_mad_co_u64_u32 v[24:25], null, v73, s6, v[9:10]
	v_and_b32_e32 v25, 0xffff, v37
	v_mul_lo_u16 v27, v45, 40
	v_lshlrev_b64_e32 v[20:21], 2, v[20:21]
	v_add_co_u32 v22, vcc_lo, s4, v22
	s_delay_alu instid0(VALU_DEP_4) | instskip(NEXT) | instid1(VALU_DEP_4)
	v_add_nc_u32_e32 v74, v73, v25
	v_sub_nc_u16 v28, v26, v27
	v_ashrrev_i32_e32 v25, 31, v24
	s_wait_alu 0xfffd
	v_add_co_ci_u32_e64 v23, null, s5, v23, vcc_lo
	v_mad_co_u64_u32 v[26:27], null, v74, s6, v[10:11]
	v_and_b32_e32 v28, 0xff, v28
	v_and_b32_e32 v27, 0xffff, v38
	v_lshlrev_b64_e32 v[24:25], 2, v[24:25]
	v_add_co_u32 v20, vcc_lo, s4, v20
	s_delay_alu instid0(VALU_DEP_4) | instskip(NEXT) | instid1(VALU_DEP_4)
	v_or_b32_e32 v31, 0x80, v28
	v_add_nc_u32_e32 v75, v74, v27
	s_wait_loadcnt 0x7
	ds_store_b32 v41, v33
	v_ashrrev_i32_e32 v27, 31, v26
	s_wait_alu 0xfffd
	v_add_co_ci_u32_e64 v21, null, s5, v21, vcc_lo
	v_mul_lo_u16 v33, 0xcd, v31
	v_mad_co_u64_u32 v[29:30], null, v75, s6, v[11:12]
	v_and_b32_e32 v30, 0xffff, v39
	v_and_b32_e32 v39, 0xffff, v46
	s_delay_alu instid0(VALU_DEP_4) | instskip(SKIP_3) | instid1(VALU_DEP_4)
	v_lshrrev_b16 v47, 13, v33
	v_lshlrev_b64_e32 v[26:27], 2, v[26:27]
	v_add_co_u32 v24, vcc_lo, s4, v24
	v_add_nc_u32_e32 v76, v75, v30
	v_mul_lo_u16 v36, v47, 40
	s_wait_loadcnt 0x6
	ds_store_b32 v42, v34
	v_ashrrev_i32_e32 v30, 31, v29
	s_wait_alu 0xfffd
	v_add_co_ci_u32_e64 v25, null, s5, v25, vcc_lo
	v_mad_co_u64_u32 v[33:34], null, v76, s6, v[12:13]
	v_and_b32_e32 v34, 0xffff, v40
	v_sub_nc_u16 v31, v31, v36
	v_lshlrev_b64_e32 v[29:30], 2, v[29:30]
	v_add_co_u32 v26, vcc_lo, s4, v26
	s_delay_alu instid0(VALU_DEP_4) | instskip(NEXT) | instid1(VALU_DEP_4)
	v_add_nc_u32_e32 v77, v76, v34
	v_and_b32_e32 v31, 0xff, v31
	s_wait_alu 0xfffd
	v_add_co_ci_u32_e64 v27, null, s5, v27, vcc_lo
	s_wait_loadcnt 0x5
	ds_store_b32 v43, v35
	v_mad_co_u64_u32 v[35:36], null, v77, s6, v[13:14]
	v_and_b32_e32 v36, 0xffff, v44
	v_or_b32_e32 v43, 0x80, v31
	v_add_co_u32 v29, vcc_lo, s4, v29
	v_ashrrev_i32_e32 v34, 31, v33
	s_delay_alu instid0(VALU_DEP_4) | instskip(NEXT) | instid1(VALU_DEP_4)
	v_add_nc_u32_e32 v78, v77, v36
	v_mul_lo_u16 v40, 0xcd, v43
	s_wait_alu 0xfffd
	v_add_co_ci_u32_e64 v30, null, s5, v30, vcc_lo
	v_lshlrev_b64_e32 v[33:34], 2, v[33:34]
	v_add_nc_u32_e32 v79, v78, v39
	v_and_b32_e32 v39, 0xffff, v45
	v_lshrrev_b16 v46, 13, v40
	v_mad_co_u64_u32 v[37:38], null, v78, s6, v[14:15]
	v_add_co_u32 v33, vcc_lo, s4, v33
	s_delay_alu instid0(VALU_DEP_4) | instskip(NEXT) | instid1(VALU_DEP_4)
	v_add_nc_u32_e32 v80, v79, v39
	v_mul_lo_u16 v44, v46, 40
	v_ashrrev_i32_e32 v36, 31, v35
	s_delay_alu instid0(VALU_DEP_4) | instskip(NEXT) | instid1(VALU_DEP_4)
	v_mad_co_u64_u32 v[39:40], null, v79, s6, v[32:33]
	v_mad_co_u64_u32 v[41:42], null, v80, s6, v[28:29]
	s_delay_alu instid0(VALU_DEP_4)
	v_sub_nc_u16 v42, v43, v44
	v_and_b32_e32 v40, 0xffff, v47
	v_ashrrev_i32_e32 v38, 31, v37
	v_lshlrev_b64_e32 v[35:36], 2, v[35:36]
	s_wait_alu 0xfffd
	v_add_co_ci_u32_e64 v34, null, s5, v34, vcc_lo
	v_and_b32_e32 v43, 0xff, v42
	v_add_nc_u32_e32 v81, v80, v40
	v_ashrrev_i32_e32 v40, 31, v39
	v_ashrrev_i32_e32 v42, 31, v41
	v_lshlrev_b64_e32 v[37:38], 2, v[37:38]
	v_or_b32_e32 v48, 0x80, v43
	v_mad_co_u64_u32 v[44:45], null, v81, s6, v[31:32]
	v_and_b32_e32 v45, 0xffff, v46
	v_lshlrev_b64_e32 v[39:40], 2, v[39:40]
	s_delay_alu instid0(VALU_DEP_4) | instskip(SKIP_1) | instid1(VALU_DEP_4)
	v_mul_lo_u16 v49, 0xcd, v48
	v_add_co_u32 v35, vcc_lo, s4, v35
	v_add_nc_u32_e32 v82, v81, v45
	v_ashrrev_i32_e32 v45, 31, v44
	s_delay_alu instid0(VALU_DEP_4)
	v_lshrrev_b16 v49, 13, v49
	v_lshlrev_b64_e32 v[41:42], 2, v[41:42]
	s_wait_alu 0xfffd
	v_add_co_ci_u32_e64 v36, null, s5, v36, vcc_lo
	v_mad_co_u64_u32 v[46:47], null, v82, s6, v[43:44]
	v_mul_lo_u16 v50, v49, 40
	v_and_b32_e32 v49, 0xffff, v49
	v_add_co_u32 v37, vcc_lo, s4, v37
	v_lshlrev_b64_e32 v[44:45], 2, v[44:45]
	s_delay_alu instid0(VALU_DEP_4) | instskip(NEXT) | instid1(VALU_DEP_4)
	v_sub_nc_u16 v48, v48, v50
	v_add_nc_u32_e32 v83, v82, v49
	v_ashrrev_i32_e32 v47, 31, v46
	s_wait_alu 0xfffd
	v_add_co_ci_u32_e64 v38, null, s5, v38, vcc_lo
	v_and_b32_e32 v48, 0xff, v48
	v_add_co_u32 v39, vcc_lo, s4, v39
	v_lshlrev_b64_e32 v[46:47], 2, v[46:47]
	s_wait_alu 0xfffd
	v_add_co_ci_u32_e64 v40, null, s5, v40, vcc_lo
	v_or_b32_e32 v51, 0x80, v48
	v_mad_co_u64_u32 v[49:50], null, v83, s6, v[48:49]
	v_add_co_u32 v41, vcc_lo, s4, v41
	s_delay_alu instid0(VALU_DEP_3) | instskip(SKIP_3) | instid1(VALU_DEP_3)
	v_mul_lo_u16 v52, 0xcd, v51
	s_wait_alu 0xfffd
	v_add_co_ci_u32_e64 v42, null, s5, v42, vcc_lo
	v_add_co_u32 v44, vcc_lo, s4, v44
	v_lshrrev_b16 v52, 13, v52
	v_ashrrev_i32_e32 v50, 31, v49
	s_wait_alu 0xfffd
	v_add_co_ci_u32_e64 v45, null, s5, v45, vcc_lo
	v_add_co_u32 v46, vcc_lo, s4, v46
	v_mul_lo_u16 v53, v52, 40
	v_and_b32_e32 v52, 0xffff, v52
	v_lshlrev_b64_e32 v[49:50], 2, v[49:50]
	s_wait_alu 0xfffd
	v_add_co_ci_u32_e64 v47, null, s5, v47, vcc_lo
	v_sub_nc_u16 v51, v51, v53
	v_add_nc_u32_e32 v84, v83, v52
	v_mul_u32_u24_e32 v15, 0xa0, v15
	v_add_co_u32 v49, vcc_lo, s4, v49
	s_delay_alu instid0(VALU_DEP_4)
	v_and_b32_e32 v51, 0xff, v51
	s_wait_alu 0xfffd
	v_add_co_ci_u32_e64 v50, null, s5, v50, vcc_lo
	v_add3_u32 v1, 0, v15, v1
	v_mul_u32_u24_e32 v15, 0xa0, v16
	v_or_b32_e32 v54, 0x80, v51
	v_mad_co_u64_u32 v[52:53], null, v84, s6, v[51:52]
	v_mul_u32_u24_e32 v16, 0xa0, v17
	v_mul_lo_u32 v17, 0xa0, v63
	s_delay_alu instid0(VALU_DEP_4) | instskip(SKIP_1) | instid1(VALU_DEP_4)
	v_mul_lo_u16 v55, 0xcd, v54
	v_add3_u32 v2, 0, v15, v2
	v_add3_u32 v3, 0, v16, v3
	v_ashrrev_i32_e32 v53, 31, v52
	s_delay_alu instid0(VALU_DEP_4) | instskip(NEXT) | instid1(VALU_DEP_2)
	v_lshrrev_b16 v55, 13, v55
	v_lshlrev_b64_e32 v[52:53], 2, v[52:53]
	s_delay_alu instid0(VALU_DEP_2) | instskip(SKIP_1) | instid1(VALU_DEP_2)
	v_mul_lo_u16 v56, v55, 40
	v_and_b32_e32 v55, 0xffff, v55
	v_sub_nc_u16 v54, v54, v56
	s_delay_alu instid0(VALU_DEP_2) | instskip(SKIP_4) | instid1(VALU_DEP_1)
	v_add_nc_u32_e32 v85, v84, v55
	v_add_co_u32 v52, vcc_lo, s4, v52
	s_wait_alu 0xfffd
	v_add_co_ci_u32_e64 v53, null, s5, v53, vcc_lo
	v_and_b32_e32 v54, 0xff, v54
	v_or_b32_e32 v57, 0x80, v54
	v_mad_co_u64_u32 v[55:56], null, v85, s6, v[54:55]
	s_delay_alu instid0(VALU_DEP_2) | instskip(NEXT) | instid1(VALU_DEP_2)
	v_mul_lo_u16 v58, 0xcd, v57
	v_ashrrev_i32_e32 v56, 31, v55
	s_delay_alu instid0(VALU_DEP_2) | instskip(NEXT) | instid1(VALU_DEP_2)
	v_lshrrev_b16 v58, 13, v58
	v_lshlrev_b64_e32 v[55:56], 2, v[55:56]
	s_delay_alu instid0(VALU_DEP_2) | instskip(SKIP_1) | instid1(VALU_DEP_2)
	v_mul_lo_u16 v59, v58, 40
	v_and_b32_e32 v58, 0xffff, v58
	v_sub_nc_u16 v57, v57, v59
	s_delay_alu instid0(VALU_DEP_2) | instskip(SKIP_4) | instid1(VALU_DEP_1)
	v_add_nc_u32_e32 v86, v85, v58
	v_add_co_u32 v55, vcc_lo, s4, v55
	s_wait_alu 0xfffd
	v_add_co_ci_u32_e64 v56, null, s5, v56, vcc_lo
	v_and_b32_e32 v57, 0xff, v57
	v_or_b32_e32 v60, 0x80, v57
	v_mad_co_u64_u32 v[58:59], null, v86, s6, v[57:58]
	s_delay_alu instid0(VALU_DEP_2) | instskip(NEXT) | instid1(VALU_DEP_2)
	v_mul_lo_u16 v61, 0xcd, v60
	v_ashrrev_i32_e32 v59, 31, v58
	s_delay_alu instid0(VALU_DEP_2) | instskip(NEXT) | instid1(VALU_DEP_2)
	v_lshrrev_b16 v61, 13, v61
	v_lshlrev_b64_e32 v[58:59], 2, v[58:59]
	s_delay_alu instid0(VALU_DEP_2) | instskip(SKIP_1) | instid1(VALU_DEP_2)
	v_mul_lo_u16 v62, v61, 40
	v_and_b32_e32 v61, 0xffff, v61
	v_sub_nc_u16 v60, v60, v62
	s_delay_alu instid0(VALU_DEP_2) | instskip(SKIP_4) | instid1(VALU_DEP_1)
	v_add_nc_u32_e32 v87, v86, v61
	v_add_co_u32 v58, vcc_lo, s4, v58
	s_wait_alu 0xfffd
	v_add_co_ci_u32_e64 v59, null, s5, v59, vcc_lo
	v_and_b32_e32 v60, 0xff, v60
	v_mad_co_u64_u32 v[61:62], null, v87, s6, v[60:61]
	s_delay_alu instid0(VALU_DEP_1) | instskip(NEXT) | instid1(VALU_DEP_1)
	v_ashrrev_i32_e32 v62, 31, v61
	v_lshlrev_b64_e32 v[61:62], 2, v[61:62]
	s_delay_alu instid0(VALU_DEP_1) | instskip(SKIP_1) | instid1(VALU_DEP_2)
	v_add_co_u32 v61, vcc_lo, s4, v61
	s_wait_alu 0xfffd
	v_add_co_ci_u32_e64 v62, null, s5, v62, vcc_lo
	s_clause 0x11
	global_load_b32 v18, v[18:19], off
	global_load_b32 v19, v[22:23], off
	;; [unrolled: 1-line block ×18, first 2 shown]
	v_mul_lo_u32 v39, 0xa0, v64
	s_wait_loadcnt 0x16
	ds_store_b32 v1, v67
	v_lshlrev_b32_e32 v1, 2, v4
	v_lshlrev_b32_e32 v4, 2, v5
	v_mul_lo_u32 v5, 0xa0, v65
	s_delay_alu instid0(VALU_DEP_3) | instskip(NEXT) | instid1(VALU_DEP_3)
	v_add3_u32 v1, 0, v17, v1
	v_add3_u32 v4, 0, v39, v4
	s_wait_loadcnt 0x15
	ds_store_b32 v2, v68
	s_wait_loadcnt 0x14
	ds_store_b32 v3, v69
	;; [unrolled: 2-line block ×4, first 2 shown]
	v_mul_lo_u32 v2, 0xa0, v66
	v_mul_lo_u32 v4, 0xa0, v72
	v_add3_u32 v1, 0, v5, v6
	v_lshlrev_b32_e32 v3, 2, v7
	v_lshlrev_b32_e32 v5, 2, v8
	v_mul_lo_u32 v6, 0xa0, v73
	v_mul_lo_u32 v7, 0xa0, v74
	v_lshlrev_b32_e32 v8, 2, v10
	v_add3_u32 v2, 0, v2, v3
	v_add3_u32 v3, 0, v4, v5
	v_mul_lo_u32 v4, 0xa0, v75
	v_lshlrev_b32_e32 v10, 2, v60
	v_add3_u32 v5, 0, v7, v8
	v_mul_lo_u32 v7, 0xa0, v79
	v_lshlrev_b32_e32 v8, 2, v32
	s_wait_loadcnt 0x11
	ds_store_b32 v1, v18
	v_lshlrev_b32_e32 v1, 2, v9
	v_lshlrev_b32_e32 v9, 2, v57
	s_delay_alu instid0(VALU_DEP_2)
	v_add3_u32 v1, 0, v6, v1
	v_lshlrev_b32_e32 v6, 2, v11
	s_wait_loadcnt 0x10
	ds_store_b32 v2, v19
	s_wait_loadcnt 0xf
	ds_store_b32 v3, v20
	s_wait_loadcnt 0xe
	ds_store_b32 v1, v21
	s_wait_loadcnt 0xd
	ds_store_b32 v5, v22
	v_mul_lo_u32 v2, 0xa0, v76
	v_lshlrev_b32_e32 v3, 2, v12
	v_add3_u32 v1, 0, v4, v6
	v_mul_lo_u32 v4, 0xa0, v77
	v_lshlrev_b32_e32 v5, 2, v13
	v_mul_lo_u32 v6, 0xa0, v78
	s_wait_loadcnt 0xc
	ds_store_b32 v1, v23
	v_lshlrev_b32_e32 v1, 2, v14
	v_add3_u32 v2, 0, v2, v3
	v_add3_u32 v3, 0, v4, v5
	v_mul_lo_u32 v4, 0xa0, v80
	s_delay_alu instid0(VALU_DEP_4)
	v_add3_u32 v1, 0, v6, v1
	v_lshlrev_b32_e32 v6, 2, v28
	v_add3_u32 v5, 0, v7, v8
	s_wait_loadcnt 0xb
	ds_store_b32 v2, v24
	s_wait_loadcnt 0xa
	ds_store_b32 v3, v25
	;; [unrolled: 2-line block ×4, first 2 shown]
	v_mul_lo_u32 v2, 0xa0, v81
	v_mul_lo_u32 v5, 0xa0, v83
	v_add3_u32 v1, 0, v4, v6
	v_mul_lo_u32 v3, 0xa0, v82
	v_lshlrev_b32_e32 v4, 2, v31
	v_or_b32_e32 v7, 0x80, v60
	v_lshlrev_b32_e32 v6, 2, v43
	s_wait_loadcnt 0x7
	ds_store_b32 v1, v29
	v_lshlrev_b32_e32 v1, 2, v48
	v_add3_u32 v2, 0, v2, v4
	v_mul_lo_u32 v4, 0xa0, v84
	v_add3_u32 v3, 0, v3, v6
	v_lshlrev_b32_e32 v6, 2, v51
	v_add3_u32 v1, 0, v5, v1
	v_mul_lo_u16 v5, 0xcd, v7
	s_wait_loadcnt 0x6
	ds_store_b32 v2, v30
	s_wait_loadcnt 0x5
	ds_store_b32 v3, v33
	;; [unrolled: 2-line block ×3, first 2 shown]
	v_lshlrev_b32_e32 v8, 2, v54
	v_add3_u32 v3, 0, v4, v6
	v_lshrrev_b16 v1, 13, v5
	v_mul_lo_u32 v4, 0xa0, v85
	v_mul_lo_u32 v5, 0xa0, v86
	;; [unrolled: 1-line block ×3, first 2 shown]
	s_delay_alu instid0(VALU_DEP_4) | instskip(SKIP_2) | instid1(VALU_DEP_3)
	v_mul_lo_u16 v2, v1, 40
	v_and_b32_e32 v1, 0xffff, v1
	v_add3_u32 v4, 0, v4, v8
	v_sub_nc_u16 v7, v7, v2
	s_delay_alu instid0(VALU_DEP_3)
	v_add_nc_u32_e32 v2, v87, v1
	v_add3_u32 v5, 0, v5, v9
	v_add3_u32 v6, 0, v6, v10
	s_wait_loadcnt 0x3
	ds_store_b32 v3, v35
	s_wait_loadcnt 0x2
	ds_store_b32 v4, v36
	;; [unrolled: 2-line block ×4, first 2 shown]
	v_and_b32_e32 v1, 0xff, v7
	v_cmpx_gt_u32_e32 0x80, v2
	s_cbranch_execz .LBB17_2
; %bb.1:
	s_delay_alu instid0(VALU_DEP_2) | instskip(SKIP_1) | instid1(VALU_DEP_2)
	v_mad_co_u64_u32 v[3:4], null, v2, s6, v[1:2]
	v_lshlrev_b32_e32 v5, 2, v1
	v_ashrrev_i32_e32 v4, 31, v3
	s_delay_alu instid0(VALU_DEP_1) | instskip(NEXT) | instid1(VALU_DEP_1)
	v_lshlrev_b64_e32 v[3:4], 2, v[3:4]
	v_add_co_u32 v3, vcc_lo, s4, v3
	s_wait_alu 0xfffd
	s_delay_alu instid0(VALU_DEP_2) | instskip(SKIP_2) | instid1(VALU_DEP_1)
	v_add_co_ci_u32_e64 v4, null, s5, v4, vcc_lo
	global_load_b32 v3, v[3:4], off
	v_mul_lo_u32 v4, 0xa0, v2
	v_add3_u32 v4, 0, v4, v5
	s_wait_loadcnt 0x0
	ds_store_b32 v4, v3
.LBB17_2:
	s_or_b32 exec_lo, exec_lo, s8
	s_delay_alu instid0(VALU_DEP_2) | instskip(SKIP_1) | instid1(VALU_DEP_1)
	v_or_b32_e32 v1, 0x80, v1
	s_mov_b32 s8, exec_lo
	v_mul_lo_u16 v3, 0xcd, v1
	s_delay_alu instid0(VALU_DEP_1) | instskip(NEXT) | instid1(VALU_DEP_1)
	v_lshrrev_b16 v3, 13, v3
	v_mul_lo_u16 v4, v3, 40
	v_and_b32_e32 v3, 0xffff, v3
	s_delay_alu instid0(VALU_DEP_2) | instskip(NEXT) | instid1(VALU_DEP_2)
	v_sub_nc_u16 v1, v1, v4
	v_add_nc_u32_e32 v2, v2, v3
	s_delay_alu instid0(VALU_DEP_2) | instskip(NEXT) | instid1(VALU_DEP_2)
	v_and_b32_e32 v1, 0xff, v1
	v_cmpx_gt_u32_e32 0x80, v2
	s_cbranch_execz .LBB17_4
; %bb.3:
	s_delay_alu instid0(VALU_DEP_2) | instskip(SKIP_1) | instid1(VALU_DEP_2)
	v_mad_co_u64_u32 v[3:4], null, v2, s6, v[1:2]
	v_lshlrev_b32_e32 v5, 2, v1
	v_ashrrev_i32_e32 v4, 31, v3
	s_delay_alu instid0(VALU_DEP_1) | instskip(NEXT) | instid1(VALU_DEP_1)
	v_lshlrev_b64_e32 v[3:4], 2, v[3:4]
	v_add_co_u32 v3, vcc_lo, s4, v3
	s_wait_alu 0xfffd
	s_delay_alu instid0(VALU_DEP_2) | instskip(SKIP_2) | instid1(VALU_DEP_1)
	v_add_co_ci_u32_e64 v4, null, s5, v4, vcc_lo
	global_load_b32 v3, v[3:4], off
	v_mul_lo_u32 v4, 0xa0, v2
	v_add3_u32 v4, 0, v4, v5
	s_wait_loadcnt 0x0
	ds_store_b32 v4, v3
.LBB17_4:
	s_or_b32 exec_lo, exec_lo, s8
	s_delay_alu instid0(VALU_DEP_2) | instskip(SKIP_1) | instid1(VALU_DEP_1)
	v_or_b32_e32 v1, 0x80, v1
	s_mov_b32 s8, exec_lo
	v_mul_lo_u16 v3, 0xcd, v1
	s_delay_alu instid0(VALU_DEP_1) | instskip(NEXT) | instid1(VALU_DEP_1)
	v_lshrrev_b16 v3, 13, v3
	v_mul_lo_u16 v4, v3, 40
	v_and_b32_e32 v3, 0xffff, v3
	s_delay_alu instid0(VALU_DEP_2) | instskip(NEXT) | instid1(VALU_DEP_2)
	v_sub_nc_u16 v1, v1, v4
	v_add_nc_u32_e32 v2, v2, v3
	s_delay_alu instid0(VALU_DEP_2) | instskip(NEXT) | instid1(VALU_DEP_2)
	v_and_b32_e32 v1, 0xff, v1
	v_cmpx_gt_u32_e32 0x80, v2
	s_cbranch_execz .LBB17_6
; %bb.5:
	s_delay_alu instid0(VALU_DEP_2) | instskip(SKIP_1) | instid1(VALU_DEP_2)
	v_mad_co_u64_u32 v[3:4], null, v2, s6, v[1:2]
	v_lshlrev_b32_e32 v5, 2, v1
	v_ashrrev_i32_e32 v4, 31, v3
	s_delay_alu instid0(VALU_DEP_1) | instskip(NEXT) | instid1(VALU_DEP_1)
	v_lshlrev_b64_e32 v[3:4], 2, v[3:4]
	v_add_co_u32 v3, vcc_lo, s4, v3
	s_wait_alu 0xfffd
	s_delay_alu instid0(VALU_DEP_2) | instskip(SKIP_2) | instid1(VALU_DEP_1)
	v_add_co_ci_u32_e64 v4, null, s5, v4, vcc_lo
	global_load_b32 v3, v[3:4], off
	v_mul_lo_u32 v4, 0xa0, v2
	v_add3_u32 v4, 0, v4, v5
	s_wait_loadcnt 0x0
	ds_store_b32 v4, v3
.LBB17_6:
	s_or_b32 exec_lo, exec_lo, s8
	s_delay_alu instid0(VALU_DEP_2) | instskip(SKIP_1) | instid1(VALU_DEP_1)
	v_or_b32_e32 v1, 0x80, v1
	s_mov_b32 s8, exec_lo
	v_mul_lo_u16 v3, 0xcd, v1
	s_delay_alu instid0(VALU_DEP_1) | instskip(NEXT) | instid1(VALU_DEP_1)
	v_lshrrev_b16 v3, 13, v3
	v_mul_lo_u16 v4, v3, 40
	v_and_b32_e32 v3, 0xffff, v3
	s_delay_alu instid0(VALU_DEP_2) | instskip(NEXT) | instid1(VALU_DEP_2)
	v_sub_nc_u16 v1, v1, v4
	v_add_nc_u32_e32 v2, v2, v3
	s_delay_alu instid0(VALU_DEP_2) | instskip(NEXT) | instid1(VALU_DEP_2)
	v_and_b32_e32 v1, 0xff, v1
	v_cmpx_gt_u32_e32 0x80, v2
	s_cbranch_execz .LBB17_8
; %bb.7:
	s_delay_alu instid0(VALU_DEP_2) | instskip(SKIP_1) | instid1(VALU_DEP_2)
	v_mad_co_u64_u32 v[3:4], null, v2, s6, v[1:2]
	v_lshlrev_b32_e32 v5, 2, v1
	v_ashrrev_i32_e32 v4, 31, v3
	s_delay_alu instid0(VALU_DEP_1) | instskip(NEXT) | instid1(VALU_DEP_1)
	v_lshlrev_b64_e32 v[3:4], 2, v[3:4]
	v_add_co_u32 v3, vcc_lo, s4, v3
	s_wait_alu 0xfffd
	s_delay_alu instid0(VALU_DEP_2) | instskip(SKIP_2) | instid1(VALU_DEP_1)
	v_add_co_ci_u32_e64 v4, null, s5, v4, vcc_lo
	global_load_b32 v3, v[3:4], off
	v_mul_lo_u32 v4, 0xa0, v2
	v_add3_u32 v4, 0, v4, v5
	s_wait_loadcnt 0x0
	ds_store_b32 v4, v3
.LBB17_8:
	s_or_b32 exec_lo, exec_lo, s8
	s_delay_alu instid0(VALU_DEP_2) | instskip(SKIP_1) | instid1(VALU_DEP_1)
	v_or_b32_e32 v1, 0x80, v1
	s_mov_b32 s8, exec_lo
	v_mul_lo_u16 v3, 0xcd, v1
	s_delay_alu instid0(VALU_DEP_1) | instskip(NEXT) | instid1(VALU_DEP_1)
	v_lshrrev_b16 v3, 13, v3
	v_mul_lo_u16 v4, v3, 40
	v_and_b32_e32 v3, 0xffff, v3
	s_delay_alu instid0(VALU_DEP_2) | instskip(NEXT) | instid1(VALU_DEP_2)
	v_sub_nc_u16 v1, v1, v4
	v_add_nc_u32_e32 v2, v2, v3
	s_delay_alu instid0(VALU_DEP_2) | instskip(NEXT) | instid1(VALU_DEP_2)
	v_and_b32_e32 v1, 0xff, v1
	v_cmpx_gt_u32_e32 0x80, v2
	s_cbranch_execz .LBB17_10
; %bb.9:
	s_delay_alu instid0(VALU_DEP_2) | instskip(SKIP_1) | instid1(VALU_DEP_2)
	v_mad_co_u64_u32 v[3:4], null, v2, s6, v[1:2]
	v_lshlrev_b32_e32 v5, 2, v1
	v_ashrrev_i32_e32 v4, 31, v3
	s_delay_alu instid0(VALU_DEP_1) | instskip(NEXT) | instid1(VALU_DEP_1)
	v_lshlrev_b64_e32 v[3:4], 2, v[3:4]
	v_add_co_u32 v3, vcc_lo, s4, v3
	s_wait_alu 0xfffd
	s_delay_alu instid0(VALU_DEP_2) | instskip(SKIP_2) | instid1(VALU_DEP_1)
	v_add_co_ci_u32_e64 v4, null, s5, v4, vcc_lo
	global_load_b32 v3, v[3:4], off
	v_mul_lo_u32 v4, 0xa0, v2
	v_add3_u32 v4, 0, v4, v5
	s_wait_loadcnt 0x0
	ds_store_b32 v4, v3
.LBB17_10:
	s_or_b32 exec_lo, exec_lo, s8
	s_delay_alu instid0(VALU_DEP_2) | instskip(SKIP_1) | instid1(VALU_DEP_1)
	v_or_b32_e32 v1, 0x80, v1
	s_mov_b32 s8, exec_lo
	v_mul_lo_u16 v3, 0xcd, v1
	s_delay_alu instid0(VALU_DEP_1) | instskip(NEXT) | instid1(VALU_DEP_1)
	v_lshrrev_b16 v3, 13, v3
	v_mul_lo_u16 v4, v3, 40
	v_and_b32_e32 v3, 0xffff, v3
	s_delay_alu instid0(VALU_DEP_2) | instskip(NEXT) | instid1(VALU_DEP_2)
	v_sub_nc_u16 v1, v1, v4
	v_add_nc_u32_e32 v2, v2, v3
	s_delay_alu instid0(VALU_DEP_2) | instskip(NEXT) | instid1(VALU_DEP_2)
	v_and_b32_e32 v1, 0xff, v1
	v_cmpx_gt_u32_e32 0x80, v2
	s_cbranch_execz .LBB17_12
; %bb.11:
	s_delay_alu instid0(VALU_DEP_2) | instskip(SKIP_1) | instid1(VALU_DEP_2)
	v_mad_co_u64_u32 v[3:4], null, v2, s6, v[1:2]
	v_lshlrev_b32_e32 v5, 2, v1
	v_ashrrev_i32_e32 v4, 31, v3
	s_delay_alu instid0(VALU_DEP_1) | instskip(NEXT) | instid1(VALU_DEP_1)
	v_lshlrev_b64_e32 v[3:4], 2, v[3:4]
	v_add_co_u32 v3, vcc_lo, s4, v3
	s_wait_alu 0xfffd
	s_delay_alu instid0(VALU_DEP_2) | instskip(SKIP_2) | instid1(VALU_DEP_1)
	v_add_co_ci_u32_e64 v4, null, s5, v4, vcc_lo
	global_load_b32 v3, v[3:4], off
	v_mul_lo_u32 v4, 0xa0, v2
	v_add3_u32 v4, 0, v4, v5
	s_wait_loadcnt 0x0
	ds_store_b32 v4, v3
.LBB17_12:
	s_or_b32 exec_lo, exec_lo, s8
	s_delay_alu instid0(VALU_DEP_2) | instskip(SKIP_1) | instid1(VALU_DEP_1)
	v_or_b32_e32 v1, 0x80, v1
	s_mov_b32 s8, exec_lo
	v_mul_lo_u16 v3, 0xcd, v1
	s_delay_alu instid0(VALU_DEP_1) | instskip(NEXT) | instid1(VALU_DEP_1)
	v_lshrrev_b16 v3, 13, v3
	v_mul_lo_u16 v4, v3, 40
	v_and_b32_e32 v3, 0xffff, v3
	s_delay_alu instid0(VALU_DEP_2) | instskip(NEXT) | instid1(VALU_DEP_2)
	v_sub_nc_u16 v1, v1, v4
	v_add_nc_u32_e32 v2, v2, v3
	s_delay_alu instid0(VALU_DEP_2) | instskip(NEXT) | instid1(VALU_DEP_2)
	v_and_b32_e32 v1, 0xff, v1
	v_cmpx_gt_u32_e32 0x80, v2
	s_cbranch_execz .LBB17_14
; %bb.13:
	s_delay_alu instid0(VALU_DEP_2) | instskip(SKIP_1) | instid1(VALU_DEP_2)
	v_mad_co_u64_u32 v[3:4], null, v2, s6, v[1:2]
	v_lshlrev_b32_e32 v5, 2, v1
	v_ashrrev_i32_e32 v4, 31, v3
	s_delay_alu instid0(VALU_DEP_1) | instskip(NEXT) | instid1(VALU_DEP_1)
	v_lshlrev_b64_e32 v[3:4], 2, v[3:4]
	v_add_co_u32 v3, vcc_lo, s4, v3
	s_wait_alu 0xfffd
	s_delay_alu instid0(VALU_DEP_2) | instskip(SKIP_2) | instid1(VALU_DEP_1)
	v_add_co_ci_u32_e64 v4, null, s5, v4, vcc_lo
	global_load_b32 v3, v[3:4], off
	v_mul_lo_u32 v4, 0xa0, v2
	v_add3_u32 v4, 0, v4, v5
	s_wait_loadcnt 0x0
	ds_store_b32 v4, v3
.LBB17_14:
	s_or_b32 exec_lo, exec_lo, s8
	s_delay_alu instid0(SALU_CYCLE_1)
	s_mov_b32 s8, exec_lo
	v_cmpx_gt_u32_e32 0x380, v0
	s_cbranch_execz .LBB17_35
; %bb.15:
	v_or_b32_e32 v1, 0x80, v1
	s_mov_b32 s9, exec_lo
	s_delay_alu instid0(VALU_DEP_1) | instskip(NEXT) | instid1(VALU_DEP_1)
	v_mul_lo_u16 v3, 0xcd, v1
	v_lshrrev_b16 v3, 13, v3
	s_delay_alu instid0(VALU_DEP_1) | instskip(SKIP_1) | instid1(VALU_DEP_2)
	v_mul_lo_u16 v4, v3, 40
	v_and_b32_e32 v3, 0xffff, v3
	v_sub_nc_u16 v1, v1, v4
	s_delay_alu instid0(VALU_DEP_2) | instskip(NEXT) | instid1(VALU_DEP_2)
	v_add_nc_u32_e32 v2, v2, v3
	v_and_b32_e32 v1, 0xff, v1
	s_delay_alu instid0(VALU_DEP_2)
	v_cmpx_gt_u32_e32 0x80, v2
	s_cbranch_execz .LBB17_17
; %bb.16:
	s_delay_alu instid0(VALU_DEP_2) | instskip(SKIP_1) | instid1(VALU_DEP_2)
	v_mad_co_u64_u32 v[3:4], null, v2, s6, v[1:2]
	v_lshlrev_b32_e32 v5, 2, v1
	v_ashrrev_i32_e32 v4, 31, v3
	s_delay_alu instid0(VALU_DEP_1) | instskip(NEXT) | instid1(VALU_DEP_1)
	v_lshlrev_b64_e32 v[3:4], 2, v[3:4]
	v_add_co_u32 v3, vcc_lo, s4, v3
	s_wait_alu 0xfffd
	s_delay_alu instid0(VALU_DEP_2) | instskip(SKIP_2) | instid1(VALU_DEP_1)
	v_add_co_ci_u32_e64 v4, null, s5, v4, vcc_lo
	global_load_b32 v3, v[3:4], off
	v_mul_lo_u32 v4, 0xa0, v2
	v_add3_u32 v4, 0, v4, v5
	s_wait_loadcnt 0x0
	ds_store_b32 v4, v3
.LBB17_17:
	s_or_b32 exec_lo, exec_lo, s9
	v_cmp_gt_u32_e32 vcc_lo, 0x300, v0
	s_and_b32 exec_lo, exec_lo, vcc_lo
	s_cbranch_execz .LBB17_35
; %bb.18:
	v_or_b32_e32 v1, 0x80, v1
	s_mov_b32 s9, exec_lo
	s_delay_alu instid0(VALU_DEP_1) | instskip(NEXT) | instid1(VALU_DEP_1)
	v_mul_lo_u16 v3, 0xcd, v1
	v_lshrrev_b16 v3, 13, v3
	s_delay_alu instid0(VALU_DEP_1) | instskip(SKIP_1) | instid1(VALU_DEP_2)
	v_mul_lo_u16 v4, v3, 40
	v_and_b32_e32 v3, 0xffff, v3
	v_sub_nc_u16 v1, v1, v4
	s_delay_alu instid0(VALU_DEP_2) | instskip(NEXT) | instid1(VALU_DEP_2)
	v_add_nc_u32_e32 v2, v2, v3
	v_and_b32_e32 v1, 0xff, v1
	s_delay_alu instid0(VALU_DEP_2)
	v_cmpx_gt_u32_e32 0x80, v2
	s_cbranch_execz .LBB17_20
; %bb.19:
	s_delay_alu instid0(VALU_DEP_2) | instskip(SKIP_1) | instid1(VALU_DEP_2)
	v_mad_co_u64_u32 v[3:4], null, v2, s6, v[1:2]
	v_lshlrev_b32_e32 v5, 2, v1
	v_ashrrev_i32_e32 v4, 31, v3
	s_delay_alu instid0(VALU_DEP_1) | instskip(NEXT) | instid1(VALU_DEP_1)
	v_lshlrev_b64_e32 v[3:4], 2, v[3:4]
	v_add_co_u32 v3, vcc_lo, s4, v3
	s_wait_alu 0xfffd
	s_delay_alu instid0(VALU_DEP_2) | instskip(SKIP_2) | instid1(VALU_DEP_1)
	v_add_co_ci_u32_e64 v4, null, s5, v4, vcc_lo
	global_load_b32 v3, v[3:4], off
	v_mul_lo_u32 v4, 0xa0, v2
	v_add3_u32 v4, 0, v4, v5
	s_wait_loadcnt 0x0
	ds_store_b32 v4, v3
.LBB17_20:
	s_or_b32 exec_lo, exec_lo, s9
	v_cmp_gt_u32_e32 vcc_lo, 0x280, v0
	s_and_b32 exec_lo, exec_lo, vcc_lo
	;; [unrolled: 37-line block ×6, first 2 shown]
	s_cbranch_execz .LBB17_35
; %bb.33:
	v_or_b32_e32 v3, 0x80, v1
	s_delay_alu instid0(VALU_DEP_1) | instskip(NEXT) | instid1(VALU_DEP_1)
	v_mul_lo_u16 v1, 0xcd, v3
	v_lshrrev_b16 v4, 13, v1
	s_delay_alu instid0(VALU_DEP_1) | instskip(NEXT) | instid1(VALU_DEP_1)
	v_and_b32_e32 v1, 0xffff, v4
	v_add_nc_u32_e32 v1, v2, v1
	s_delay_alu instid0(VALU_DEP_1)
	v_cmp_gt_u32_e32 vcc_lo, 0x80, v1
	s_and_b32 exec_lo, exec_lo, vcc_lo
	s_cbranch_execz .LBB17_35
; %bb.34:
	v_mul_lo_u16 v2, v4, 40
	s_delay_alu instid0(VALU_DEP_1) | instskip(NEXT) | instid1(VALU_DEP_1)
	v_sub_nc_u16 v2, v3, v2
	v_and_b32_e32 v2, 0xff, v2
	s_delay_alu instid0(VALU_DEP_1) | instskip(SKIP_2) | instid1(VALU_DEP_3)
	v_mad_co_u64_u32 v[3:4], null, v1, s6, v[2:3]
	v_mul_lo_u32 v1, 0xa0, v1
	v_lshlrev_b32_e32 v2, 2, v2
	v_ashrrev_i32_e32 v4, 31, v3
	s_delay_alu instid0(VALU_DEP_2) | instskip(NEXT) | instid1(VALU_DEP_2)
	v_add3_u32 v1, 0, v1, v2
	v_lshlrev_b64_e32 v[3:4], 2, v[3:4]
	s_delay_alu instid0(VALU_DEP_1) | instskip(SKIP_1) | instid1(VALU_DEP_2)
	v_add_co_u32 v3, vcc_lo, s4, v3
	s_wait_alu 0xfffd
	v_add_co_ci_u32_e64 v4, null, s5, v4, vcc_lo
	global_load_b32 v3, v[3:4], off
	s_wait_loadcnt 0x0
	ds_store_b32 v1, v3
.LBB17_35:
	s_or_b32 exec_lo, exec_lo, s8
	s_clause 0x1
	s_load_b128 s[8:11], s[0:1], 0x8
	s_load_b64 s[4:5], s[0:1], 0x28
	s_ashr_i32 s6, s7, 2
	s_ashr_i32 s15, s7, 31
	s_wait_alu 0xfffe
	v_mul_lo_u32 v1, s6, v0
	s_mov_b32 s14, s7
	s_wait_dscnt 0x0
	s_mul_u64 s[6:7], s[2:3], s[14:15]
	s_barrier_signal -1
	s_barrier_wait -1
	global_inv scope:SCOPE_SE
	v_lshlrev_b32_e32 v10, 2, v0
	v_ashrrev_i32_e32 v2, 31, v1
	s_delay_alu instid0(VALU_DEP_1)
	v_lshlrev_b64_e32 v[1:2], 2, v[1:2]
	s_wait_kmcnt 0x0
	s_wait_alu 0xfffe
	s_add_nc_u64 s[6:7], s[8:9], s[6:7]
	s_cmp_eq_u64 s[10:11], 0
	s_wait_alu 0xfffe
	v_add_co_u32 v5, vcc_lo, s6, v1
	s_wait_alu 0xfffd
	v_add_co_ci_u32_e64 v6, null, s7, v2, vcc_lo
	s_clause 0x2
	global_load_b32 v13, v[5:6], off offset:32
	global_load_b128 v[1:4], v[5:6], off offset:16
	global_load_b128 v[5:8], v[5:6], off
	s_cbranch_scc1 .LBB17_37
; %bb.36:
	s_lshl_b32 s6, s2, 2
	s_mov_b32 s7, 0
	s_wait_alu 0xfffe
	s_add_nc_u64 s[6:7], s[10:11], s[6:7]
	global_load_b32 v14, v10, s[6:7]
	s_branch .LBB17_38
.LBB17_37:
	v_mov_b32_e32 v14, 0
.LBB17_38:
	s_load_b64 s[6:7], s[0:1], 0x40
	s_wait_kmcnt 0x0
	s_sub_nc_u64 s[6:7], s[6:7], s[12:13]
	s_wait_alu 0xfffe
	v_cmp_lt_i64_e64 s8, s[6:7], 1
	s_and_b32 vcc_lo, exec_lo, s8
	s_wait_alu 0xfffe
	s_cbranch_vccnz .LBB17_41
; %bb.39:
	s_load_b96 s[8:10], s[0:1], 0x30
	v_mad_u32_u24 v0, 0xa0, v0, 0
	v_cmp_lt_u64_e64 s16, s[6:7], 32
	ds_load_b32 v9, v0
	s_wait_kmcnt 0x0
	s_mul_i32 s0, s10, ttmp9
	s_ashr_i32 s11, s9, 31
	s_mov_b32 s10, s9
	s_ashr_i32 s15, s8, 31
	s_mov_b32 s14, s8
	s_mul_u64 s[10:11], s[12:13], s[10:11]
	s_mul_u64 s[2:3], s[2:3], s[14:15]
	s_ashr_i32 s1, s0, 31
	s_add_nc_u64 s[2:3], s[2:3], s[10:11]
	s_add_nc_u64 s[0:1], s[4:5], s[0:1]
	s_ashr_i32 s8, s9, 2
	s_add_nc_u64 s[0:1], s[0:1], s[2:3]
	s_ashr_i32 s9, s8, 31
	v_add_co_u32 v11, s0, s0, v10
	s_wait_alu 0xf1ff
	v_add_co_ci_u32_e64 v12, null, s1, 0, s0
	s_and_b32 s4, s16, exec_lo
	s_cselect_b32 s1, s7, 0
	s_cselect_b32 s0, s6, 32
	s_lshl_b64 s[2:3], s[8:9], 2
.LBB17_40:                              ; =>This Inner Loop Header: Depth=1
	s_wait_loadcnt_dscnt 0x0
	v_fma_f32 v21, v5, v9, 0
	ds_load_2addr_b32 v[9:10], v0 offset0:1 offset1:2
	ds_load_2addr_b32 v[15:16], v0 offset0:3 offset1:4
	v_add_nc_u32_e32 v22, 4, v0
	ds_load_2addr_b32 v[17:18], v0 offset0:5 offset1:6
	ds_load_2addr_b32 v[19:20], v0 offset0:7 offset1:8
	s_wait_alu 0xfffe
	s_add_nc_u64 s[0:1], s[0:1], -1
	s_wait_alu 0xfffe
	s_cmp_lg_u64 s[0:1], 0
	s_wait_dscnt 0x3
	v_fmac_f32_e32 v21, v6, v9
	s_delay_alu instid0(VALU_DEP_1) | instskip(SKIP_1) | instid1(VALU_DEP_1)
	v_dual_mov_b32 v0, v22 :: v_dual_fmac_f32 v21, v7, v10
	s_wait_dscnt 0x2
	v_fmac_f32_e32 v21, v8, v15
	s_delay_alu instid0(VALU_DEP_1) | instskip(SKIP_1) | instid1(VALU_DEP_1)
	v_fmac_f32_e32 v21, v1, v16
	s_wait_dscnt 0x1
	v_fmac_f32_e32 v21, v2, v17
	s_delay_alu instid0(VALU_DEP_1) | instskip(SKIP_1) | instid1(VALU_DEP_1)
	v_fmac_f32_e32 v21, v3, v18
	s_wait_dscnt 0x0
	v_fmac_f32_e32 v21, v4, v19
	s_delay_alu instid0(VALU_DEP_1) | instskip(NEXT) | instid1(VALU_DEP_1)
	v_fmac_f32_e32 v21, v13, v20
	v_add_f32_e32 v10, v14, v21
	global_store_b32 v[11:12], v10, off
	v_add_co_u32 v11, vcc_lo, v11, s2
	s_wait_alu 0xfffd
	v_add_co_ci_u32_e64 v12, null, s3, v12, vcc_lo
	s_cbranch_scc1 .LBB17_40
.LBB17_41:
	s_endpgm
	.section	.rodata,"a",@progbits
	.p2align	6, 0x0
	.amdhsa_kernel _ZL23ssm_conv_long_token_f32ILb0ELm128ELm9ELl32EEvPKfS1_S1_iiiiPfiiil
		.amdhsa_group_segment_fixed_size 0
		.amdhsa_private_segment_fixed_size 0
		.amdhsa_kernarg_size 72
		.amdhsa_user_sgpr_count 2
		.amdhsa_user_sgpr_dispatch_ptr 0
		.amdhsa_user_sgpr_queue_ptr 0
		.amdhsa_user_sgpr_kernarg_segment_ptr 1
		.amdhsa_user_sgpr_dispatch_id 0
		.amdhsa_user_sgpr_private_segment_size 0
		.amdhsa_wavefront_size32 1
		.amdhsa_uses_dynamic_stack 0
		.amdhsa_enable_private_segment 0
		.amdhsa_system_sgpr_workgroup_id_x 1
		.amdhsa_system_sgpr_workgroup_id_y 1
		.amdhsa_system_sgpr_workgroup_id_z 1
		.amdhsa_system_sgpr_workgroup_info 0
		.amdhsa_system_vgpr_workitem_id 0
		.amdhsa_next_free_vgpr 88
		.amdhsa_next_free_sgpr 18
		.amdhsa_reserve_vcc 1
		.amdhsa_float_round_mode_32 0
		.amdhsa_float_round_mode_16_64 0
		.amdhsa_float_denorm_mode_32 3
		.amdhsa_float_denorm_mode_16_64 3
		.amdhsa_fp16_overflow 0
		.amdhsa_workgroup_processor_mode 1
		.amdhsa_memory_ordered 1
		.amdhsa_forward_progress 1
		.amdhsa_inst_pref_size 60
		.amdhsa_round_robin_scheduling 0
		.amdhsa_exception_fp_ieee_invalid_op 0
		.amdhsa_exception_fp_denorm_src 0
		.amdhsa_exception_fp_ieee_div_zero 0
		.amdhsa_exception_fp_ieee_overflow 0
		.amdhsa_exception_fp_ieee_underflow 0
		.amdhsa_exception_fp_ieee_inexact 0
		.amdhsa_exception_int_div_zero 0
	.end_amdhsa_kernel
	.section	.text._ZL23ssm_conv_long_token_f32ILb0ELm128ELm9ELl32EEvPKfS1_S1_iiiiPfiiil,"axG",@progbits,_ZL23ssm_conv_long_token_f32ILb0ELm128ELm9ELl32EEvPKfS1_S1_iiiiPfiiil,comdat
.Lfunc_end17:
	.size	_ZL23ssm_conv_long_token_f32ILb0ELm128ELm9ELl32EEvPKfS1_S1_iiiiPfiiil, .Lfunc_end17-_ZL23ssm_conv_long_token_f32ILb0ELm128ELm9ELl32EEvPKfS1_S1_iiiiPfiiil
                                        ; -- End function
	.set _ZL23ssm_conv_long_token_f32ILb0ELm128ELm9ELl32EEvPKfS1_S1_iiiiPfiiil.num_vgpr, 88
	.set _ZL23ssm_conv_long_token_f32ILb0ELm128ELm9ELl32EEvPKfS1_S1_iiiiPfiiil.num_agpr, 0
	.set _ZL23ssm_conv_long_token_f32ILb0ELm128ELm9ELl32EEvPKfS1_S1_iiiiPfiiil.numbered_sgpr, 18
	.set _ZL23ssm_conv_long_token_f32ILb0ELm128ELm9ELl32EEvPKfS1_S1_iiiiPfiiil.num_named_barrier, 0
	.set _ZL23ssm_conv_long_token_f32ILb0ELm128ELm9ELl32EEvPKfS1_S1_iiiiPfiiil.private_seg_size, 0
	.set _ZL23ssm_conv_long_token_f32ILb0ELm128ELm9ELl32EEvPKfS1_S1_iiiiPfiiil.uses_vcc, 1
	.set _ZL23ssm_conv_long_token_f32ILb0ELm128ELm9ELl32EEvPKfS1_S1_iiiiPfiiil.uses_flat_scratch, 0
	.set _ZL23ssm_conv_long_token_f32ILb0ELm128ELm9ELl32EEvPKfS1_S1_iiiiPfiiil.has_dyn_sized_stack, 0
	.set _ZL23ssm_conv_long_token_f32ILb0ELm128ELm9ELl32EEvPKfS1_S1_iiiiPfiiil.has_recursion, 0
	.set _ZL23ssm_conv_long_token_f32ILb0ELm128ELm9ELl32EEvPKfS1_S1_iiiiPfiiil.has_indirect_call, 0
	.section	.AMDGPU.csdata,"",@progbits
; Kernel info:
; codeLenInByte = 7664
; TotalNumSgprs: 20
; NumVgprs: 88
; ScratchSize: 0
; MemoryBound: 0
; FloatMode: 240
; IeeeMode: 1
; LDSByteSize: 0 bytes/workgroup (compile time only)
; SGPRBlocks: 0
; VGPRBlocks: 10
; NumSGPRsForWavesPerEU: 20
; NumVGPRsForWavesPerEU: 88
; Occupancy: 16
; WaveLimiterHint : 0
; COMPUTE_PGM_RSRC2:SCRATCH_EN: 0
; COMPUTE_PGM_RSRC2:USER_SGPR: 2
; COMPUTE_PGM_RSRC2:TRAP_HANDLER: 0
; COMPUTE_PGM_RSRC2:TGID_X_EN: 1
; COMPUTE_PGM_RSRC2:TGID_Y_EN: 1
; COMPUTE_PGM_RSRC2:TGID_Z_EN: 1
; COMPUTE_PGM_RSRC2:TIDIG_COMP_CNT: 0
	.section	.text._ZL12ssm_conv_f32ILb0ELm128ELm15EEvPKfS1_S1_iiiiPfiiil,"axG",@progbits,_ZL12ssm_conv_f32ILb0ELm128ELm15EEvPKfS1_S1_iiiiPfiiil,comdat
	.globl	_ZL12ssm_conv_f32ILb0ELm128ELm15EEvPKfS1_S1_iiiiPfiiil ; -- Begin function _ZL12ssm_conv_f32ILb0ELm128ELm15EEvPKfS1_S1_iiiiPfiiil
	.p2align	8
	.type	_ZL12ssm_conv_f32ILb0ELm128ELm15EEvPKfS1_S1_iiiiPfiiil,@function
_ZL12ssm_conv_f32ILb0ELm128ELm15EEvPKfS1_S1_iiiiPfiiil: ; @_ZL12ssm_conv_f32ILb0ELm128ELm15EEvPKfS1_S1_iiiiPfiiil
; %bb.0:
	s_load_b64 s[2:3], s[0:1], 0x10
	s_mov_b32 s4, ttmp7
	s_ashr_i32 s5, ttmp7, 31
	v_lshlrev_b32_e32 v15, 2, v0
	s_lshl_b64 s[12:13], s[4:5], 7
	s_wait_kmcnt 0x0
	s_cmp_eq_u64 s[2:3], 0
	s_cbranch_scc1 .LBB18_2
; %bb.1:
	s_lshl_b64 s[4:5], s[12:13], 2
	s_delay_alu instid0(SALU_CYCLE_1)
	s_add_nc_u64 s[2:3], s[2:3], s[4:5]
	global_load_b32 v35, v15, s[2:3]
	s_load_b64 s[2:3], s[0:1], 0x40
	s_wait_kmcnt 0x0
	v_cmp_lt_i64_e64 s4, s[2:3], 1
	s_and_b32 vcc_lo, exec_lo, s4
	s_cbranch_vccz .LBB18_3
	s_branch .LBB18_6
.LBB18_2:
	v_mov_b32_e32 v35, 0
	s_load_b64 s[2:3], s[0:1], 0x40
	s_wait_kmcnt 0x0
	v_cmp_lt_i64_e64 s4, s[2:3], 1
	s_and_b32 vcc_lo, exec_lo, s4
	s_cbranch_vccnz .LBB18_6
.LBB18_3:
	s_clause 0x1
	s_load_b96 s[8:10], s[0:1], 0x1c
	s_load_b128 s[4:7], s[0:1], 0x0
	s_wait_kmcnt 0x0
	s_ashr_i32 s11, s8, 2
	s_ashr_i32 s14, s10, 2
	v_mul_lo_u32 v1, s11, v0
	v_mul_lo_u32 v3, s14, v0
	s_mul_i32 s14, s9, ttmp9
	s_ashr_i32 s9, s8, 31
	s_wait_alu 0xfffe
	s_ashr_i32 s15, s14, 31
	s_ashr_i32 s11, s10, 31
	s_mul_u64 s[8:9], s[12:13], s[8:9]
	s_wait_alu 0xfffe
	s_add_nc_u64 s[4:5], s[4:5], s[14:15]
	v_ashrrev_i32_e32 v2, 31, v1
	v_ashrrev_i32_e32 v4, 31, v3
	s_mul_u64 s[10:11], s[12:13], s[10:11]
	s_add_nc_u64 s[4:5], s[4:5], s[8:9]
	s_wait_alu 0xfffe
	s_add_nc_u64 s[6:7], s[6:7], s[10:11]
	v_lshlrev_b64_e32 v[0:1], 2, v[1:2]
	v_lshlrev_b64_e32 v[2:3], 2, v[3:4]
	s_delay_alu instid0(VALU_DEP_2) | instskip(NEXT) | instid1(VALU_DEP_1)
	v_add_co_u32 v31, vcc_lo, s4, v0
	v_add_co_ci_u32_e64 v32, null, s5, v1, vcc_lo
	s_delay_alu instid0(VALU_DEP_3) | instskip(SKIP_1) | instid1(VALU_DEP_4)
	v_add_co_u32 v12, vcc_lo, s6, v2
	s_wait_alu 0xfffd
	v_add_co_ci_u32_e64 v13, null, s7, v3, vcc_lo
	global_load_b128 v[0:3], v[31:32], off
	s_clause 0x1
	global_load_b128 v[16:19], v[12:13], off
	global_load_b128 v[20:23], v[12:13], off offset:16
	s_clause 0x1
	global_load_b128 v[4:7], v[31:32], off offset:16
	global_load_b128 v[8:11], v[31:32], off offset:32
	s_clause 0x1
	global_load_b128 v[24:27], v[12:13], off offset:32
	global_load_b96 v[28:30], v[12:13], off offset:48
	global_load_b96 v[12:14], v[31:32], off offset:48
	s_clause 0x1
	s_load_b96 s[4:6], s[0:1], 0x30
	s_load_b64 s[0:1], s[0:1], 0x28
	s_wait_kmcnt 0x0
	s_mul_i32 s6, s6, ttmp9
	s_ashr_i32 s9, s4, 31
	s_wait_alu 0xfffe
	s_ashr_i32 s7, s6, 31
	s_mov_b32 s8, s4
	s_wait_alu 0xfffe
	s_add_nc_u64 s[6:7], s[0:1], s[6:7]
	s_mul_u64 s[8:9], s[12:13], s[8:9]
	s_cmp_eq_u64 s[2:3], 1
	s_wait_alu 0xfffe
	s_add_nc_u64 s[0:1], s[6:7], s[8:9]
	s_wait_loadcnt 0x6
	v_fma_f32 v33, v16, v0, 0
	s_delay_alu instid0(VALU_DEP_1) | instskip(NEXT) | instid1(VALU_DEP_1)
	v_fmac_f32_e32 v33, v17, v1
	v_fmac_f32_e32 v33, v18, v2
	s_delay_alu instid0(VALU_DEP_1) | instskip(SKIP_1) | instid1(VALU_DEP_1)
	v_fmac_f32_e32 v33, v19, v3
	s_wait_loadcnt 0x4
	v_fmac_f32_e32 v33, v20, v4
	s_delay_alu instid0(VALU_DEP_1) | instskip(NEXT) | instid1(VALU_DEP_1)
	v_fmac_f32_e32 v33, v21, v5
	v_fmac_f32_e32 v33, v22, v6
	s_delay_alu instid0(VALU_DEP_1) | instskip(SKIP_1) | instid1(VALU_DEP_1)
	v_fmac_f32_e32 v33, v23, v7
	s_wait_loadcnt 0x2
	v_fmac_f32_e32 v33, v24, v8
	;; [unrolled: 7-line block ×3, first 2 shown]
	s_delay_alu instid0(VALU_DEP_1) | instskip(NEXT) | instid1(VALU_DEP_1)
	v_fmac_f32_e32 v33, v29, v13
	v_fmac_f32_e32 v33, v30, v14
	s_delay_alu instid0(VALU_DEP_1)
	v_add_f32_e32 v33, v35, v33
	global_store_b32 v15, v33, s[0:1]
	s_cbranch_scc1 .LBB18_6
; %bb.4:
	s_ashr_i32 s0, s5, 2
	v_add_co_u32 v31, vcc_lo, v31, 60
	s_ashr_i32 s1, s0, 31
	s_wait_alu 0xfffd
	v_add_co_ci_u32_e64 v32, null, 0, v32, vcc_lo
	s_lshl_b64 s[0:1], s[0:1], 2
	s_add_nc_u64 s[2:3], s[2:3], -1
	s_add_nc_u64 s[4:5], s[8:9], s[0:1]
	s_mov_b64 s[8:9], 15
	s_wait_alu 0xfffe
	s_add_nc_u64 s[4:5], s[6:7], s[4:5]
	s_mov_b64 s[6:7], 0
	s_wait_alu 0xfffe
	v_add_co_u32 v33, s4, s4, v15
	s_wait_alu 0xf1ff
	v_add_co_ci_u32_e64 v34, null, s5, 0, s4
	s_mov_b64 s[4:5], 1
	s_mov_b64 s[10:11], 14
	;; [unrolled: 1-line block ×16, first 2 shown]
	s_mov_b32 s43, 0
.LBB18_5:                               ; =>This Inner Loop Header: Depth=1
	global_load_b32 v15, v[31:32], off
	s_wait_alu 0xfffe
	s_mov_b32 s48, s4
	s_mov_b32 s49, s43
	;; [unrolled: 1-line block ×12, first 2 shown]
	s_mul_u64 s[96:97], s[48:49], s[30:31]
	s_mul_u64 s[98:99], s[62:63], s[30:31]
	;; [unrolled: 1-line block ×3, first 2 shown]
	s_mov_b32 s42, s5
	s_mov_b32 s86, s18
	;; [unrolled: 1-line block ×4, first 2 shown]
	s_mul_u64 s[96:97], s[78:79], s[30:31]
	s_mov_b32 s70, s99
	s_mul_u64 s[98:99], s[80:81], s[30:31]
	s_mov_b32 s82, s101
	;; [unrolled: 2-line block ×6, first 2 shown]
	s_mov_b32 s53, s43
	s_mov_b32 s71, s43
	;; [unrolled: 1-line block ×3, first 2 shown]
	s_mul_u64 s[96:97], s[42:43], s[30:31]
	s_add_nc_u64 s[98:99], s[98:99], s[52:53]
	s_mul_u64 s[102:103], s[42:43], s[34:35]
	s_mov_b32 s42, s11
	s_add_nc_u64 s[70:71], s[96:97], s[70:71]
	s_mul_u64 s[52:53], s[42:43], s[30:31]
	s_mul_u64 s[48:49], s[48:49], s[34:35]
	;; [unrolled: 1-line block ×3, first 2 shown]
	s_mov_b32 s44, s99
	s_mov_b32 s99, s43
	s_mul_u64 s[96:97], s[42:43], s[34:35]
	s_mov_b32 s42, s13
	s_mov_b32 s50, s71
	s_mov_b32 s71, s43
	s_mov_b32 s89, s43
	s_add_nc_u64 s[48:49], s[48:49], s[98:99]
	s_add_nc_u64 s[70:71], s[62:63], s[70:71]
	s_mul_u64 s[62:63], s[42:43], s[30:31]
	s_mov_b32 s45, s43
	s_mov_b32 s47, s43
	;; [unrolled: 1-line block ×4, first 2 shown]
	s_add_nc_u64 s[88:89], s[62:63], s[88:89]
	s_mov_b32 s46, s49
	s_mov_b32 s54, s71
	s_mul_u64 s[98:99], s[42:43], s[34:35]
	s_mov_b32 s42, s15
	s_mov_b32 s83, s43
	;; [unrolled: 1-line block ×3, first 2 shown]
	s_mul_u64 s[70:71], s[42:43], s[30:31]
	s_add_nc_u64 s[44:45], s[44:45], s[46:47]
	s_add_nc_u64 s[46:47], s[50:51], s[54:55]
	s_mul_u64 s[50:51], s[78:79], s[34:35]
	s_mov_b32 s60, s89
	s_mov_b32 s89, s43
	s_add_nc_u64 s[82:83], s[52:53], s[82:83]
	s_add_nc_u64 s[90:91], s[70:71], s[90:91]
	s_mul_u64 s[78:79], s[42:43], s[34:35]
	s_mov_b32 s42, s17
	s_add_nc_u64 s[50:51], s[50:51], s[88:89]
	s_mul_u64 s[72:73], s[72:73], s[34:35]
	s_mov_b32 s56, s83
	s_mov_b32 s83, s43
	s_mul_u64 s[54:55], s[42:43], s[30:31]
	s_add_nc_u64 s[44:45], s[100:101], s[44:45]
	s_mul_u64 s[80:81], s[80:81], s[34:35]
	s_mov_b32 s66, s51
	s_mul_u64 s[50:51], s[42:43], s[34:35]
	s_mov_b32 s42, s19
	s_mov_b32 s64, s91
	;; [unrolled: 1-line block ×7, first 2 shown]
	s_add_nc_u64 s[82:83], s[72:73], s[82:83]
	s_add_nc_u64 s[46:47], s[102:103], s[46:47]
	;; [unrolled: 1-line block ×3, first 2 shown]
	s_mul_u64 s[90:91], s[42:43], s[30:31]
	s_lshr_b64 s[44:45], s[44:45], 3
	s_mov_b32 s102, s26
	s_mov_b32 s103, s43
	;; [unrolled: 1-line block ×7, first 2 shown]
	s_add_nc_u64 s[82:83], s[54:55], s[92:93]
	s_add_nc_u64 s[90:91], s[90:91], s[94:95]
	;; [unrolled: 1-line block ×3, first 2 shown]
	s_mov_b32 s68, s81
	s_lshr_b64 s[46:47], s[46:47], 3
	s_mul_i32 s33, s44, 15
	s_mul_u64 s[44:45], s[102:103], s[30:31]
	v_add_co_u32 v31, vcc_lo, v31, 4
	s_mul_u64 s[70:71], s[48:49], s[30:31]
	s_mul_u64 s[66:67], s[84:85], s[34:35]
	;; [unrolled: 1-line block ×3, first 2 shown]
	s_mov_b32 s42, s21
	s_mov_b32 s74, s83
	s_mov_b32 s83, s43
	s_mul_i32 s104, s46, 15
	s_add_nc_u64 s[46:47], s[98:99], s[60:61]
	s_mov_b32 s98, s45
	s_add_nc_u64 s[44:45], s[64:65], s[68:69]
	s_mul_u64 s[64:65], s[86:87], s[34:35]
	s_mov_b32 s52, s91
	s_mov_b32 s91, s43
	;; [unrolled: 1-line block ×4, first 2 shown]
	s_wait_alu 0xfffd
	v_add_co_ci_u32_e64 v32, null, 0, v32, vcc_lo
	s_mov_b32 vcc_lo, s71
	s_mov_b32 vcc_hi, s43
	s_add_nc_u64 s[66:67], s[66:67], s[82:83]
	s_mul_u64 s[82:83], s[42:43], s[30:31]
	s_add_nc_u64 s[64:65], s[64:65], s[90:91]
	s_mov_b32 s90, s28
	s_mov_b32 s75, s43
	;; [unrolled: 1-line block ×4, first 2 shown]
	s_add_nc_u64 s[58:59], s[56:57], s[58:59]
	s_mov_b32 s94, s24
	s_wait_alu 0xfffe
	s_add_nc_u64 s[82:83], s[82:83], vcc
	s_mov_b32 s76, s67
	s_mul_u64 s[66:67], s[42:43], s[34:35]
	s_mov_b32 s42, s23
	s_add_nc_u64 s[78:79], s[78:79], s[44:45]
	s_mul_u64 s[44:45], s[90:91], s[30:31]
	s_mul_u64 s[54:55], s[88:89], s[30:31]
	s_add_nc_u64 s[96:97], s[96:97], s[58:59]
	s_mul_u64 s[58:59], s[94:95], s[30:31]
	s_mul_u64 s[68:69], s[42:43], s[30:31]
	s_add_nc_u64 s[74:75], s[74:75], s[76:77]
	s_mov_b32 s76, s45
	s_mul_u64 s[44:45], s[48:49], s[34:35]
	s_mov_b32 s62, s65
	s_mul_u64 s[64:65], s[42:43], s[34:35]
	s_mov_b32 s42, s25
	s_mov_b32 s70, s83
	;; [unrolled: 1-line block ×6, first 2 shown]
	s_add_nc_u64 s[82:83], s[44:45], s[82:83]
	s_mul_u64 s[44:45], s[42:43], s[30:31]
	s_lshr_b64 s[48:49], s[96:97], 3
	s_lshr_b64 s[46:47], s[46:47], 3
	s_mov_b32 s96, s36
	s_mov_b32 s97, s43
	;; [unrolled: 1-line block ×4, first 2 shown]
	s_add_nc_u64 s[68:69], s[68:69], s[92:93]
	s_add_nc_u64 s[92:93], s[44:45], s[100:101]
	s_mul_i32 s100, s46, 15
	s_mul_u64 s[46:47], s[96:97], s[30:31]
	s_add_nc_u64 s[74:75], s[50:51], s[74:75]
	s_add_nc_u64 s[50:51], s[52:53], s[62:63]
	s_mov_b32 s62, s47
	s_mul_u64 s[46:47], s[88:89], s[34:35]
	s_mov_b32 s72, s83
	s_mul_u64 s[82:83], s[42:43], s[34:35]
	s_mov_b32 s42, s27
	s_mov_b32 s54, s69
	;; [unrolled: 1-line block ×5, first 2 shown]
	s_add_nc_u64 s[52:53], s[46:47], s[68:69]
	s_mul_u64 s[46:47], s[42:43], s[30:31]
	s_mul_u64 s[88:89], s[94:95], s[34:35]
	;; [unrolled: 1-line block ×3, first 2 shown]
	s_mov_b32 s42, s29
	s_add_nc_u64 s[70:71], s[70:71], s[72:73]
	s_mov_b32 s72, s38
	s_mov_b32 s56, s53
	s_mul_u64 s[52:53], s[42:43], s[30:31]
	s_mov_b32 s99, s43
	s_mov_b32 s58, s93
	;; [unrolled: 1-line block ×3, first 2 shown]
	s_add_nc_u64 s[76:77], s[52:53], s[76:77]
	s_mul_u64 s[52:53], s[72:73], s[30:31]
	s_add_nc_u64 s[68:69], s[46:47], s[98:99]
	s_add_nc_u64 s[88:89], s[88:89], s[92:93]
	s_mov_b32 s92, s53
	s_lshr_b64 s[52:53], s[78:79], 3
	s_lshr_b64 s[74:75], s[74:75], 3
	s_add_nc_u64 s[80:81], s[80:81], s[50:51]
	s_mul_i32 s50, s52, 15
	s_mul_i32 s52, s74, 15
	s_mul_u64 s[74:75], s[102:103], s[34:35]
	s_mul_u64 s[78:79], s[42:43], s[34:35]
	s_mov_b32 s42, s37
	s_mov_b32 s60, s69
	s_mov_b32 s69, s43
	s_mov_b32 s55, s43
	s_mov_b32 s84, s89
	s_add_nc_u64 s[68:69], s[74:75], s[68:69]
	s_mul_u64 s[74:75], s[42:43], s[30:31]
	s_mul_u64 s[88:89], s[90:91], s[34:35]
	s_mov_b32 s44, s77
	s_mov_b32 s77, s43
	;; [unrolled: 1-line block ×3, first 2 shown]
	s_mul_i32 s48, s48, 15
	s_add_nc_u64 s[54:55], s[54:55], s[56:57]
	s_mov_b32 s56, s40
	s_add_nc_u64 s[62:63], s[74:75], s[62:63]
	s_mov_b32 s86, s69
	s_mul_u64 s[68:69], s[42:43], s[34:35]
	s_mov_b32 s42, s39
	s_add_nc_u64 s[76:77], s[88:89], s[76:77]
	s_add_nc_u64 s[66:67], s[66:67], s[70:71]
	s_mul_u64 s[74:75], s[56:57], s[30:31]
	s_mul_u64 s[88:89], s[42:43], s[30:31]
	s_add_nc_u64 s[60:61], s[60:61], s[86:87]
	s_mul_u64 s[86:87], s[96:97], s[34:35]
	s_sub_co_i32 s97, s6, s48
	s_mov_b32 s48, s77
	s_mul_u64 s[76:77], s[42:43], s[34:35]
	s_mov_b32 s42, s41
	s_mov_b32 s46, s63
	;; [unrolled: 1-line block ×7, first 2 shown]
	s_lshr_b64 s[66:67], s[66:67], 3
	s_add_nc_u64 s[62:63], s[86:87], s[62:63]
	s_mul_u64 s[86:87], s[42:43], s[30:31]
	s_mov_b32 s45, s43
	s_mov_b32 s49, s43
	s_add_nc_u64 s[54:55], s[64:65], s[54:55]
	s_add_nc_u64 s[58:59], s[58:59], s[84:85]
	;; [unrolled: 1-line block ×3, first 2 shown]
	s_lshr_b64 s[80:81], s[80:81], 3
	s_mul_i32 s70, s66, 15
	s_mul_u64 s[66:67], s[90:91], s[30:31]
	s_add_nc_u64 s[74:75], s[86:87], s[74:75]
	s_mul_u64 s[86:87], s[42:43], s[34:35]
	s_mov_b32 s42, s7
	s_mul_i32 s64, s80, 15
	s_mov_b32 s66, s67
	s_mov_b32 s67, s43
	s_add_nc_u64 s[58:59], s[82:83], s[58:59]
	s_mul_u64 s[72:73], s[72:73], s[34:35]
	s_mul_u64 s[92:93], s[42:43], s[30:31]
	s_add_nc_u64 s[44:45], s[44:45], s[48:49]
	s_mul_u64 s[48:49], s[42:43], s[34:35]
	s_sub_co_i32 s42, s6, s52
	s_lshr_b64 s[54:55], s[54:55], 3
	s_mov_b32 s52, s89
	s_mov_b32 s89, s43
	;; [unrolled: 1-line block ×4, first 2 shown]
	s_mul_u64 s[56:57], s[56:57], s[34:35]
	s_sub_co_i32 s99, s6, s50
	s_add_nc_u64 s[60:61], s[94:95], s[60:61]
	s_sub_co_i32 s94, s6, s64
	s_mul_i32 s82, s54, 15
	s_lshr_b64 s[54:55], s[58:59], 3
	s_mov_b32 s50, s63
	s_add_nc_u64 s[58:59], s[72:73], s[88:89]
	s_mov_b32 s64, s75
	s_mov_b32 s75, s43
	s_add_nc_u64 s[62:63], s[92:93], s[66:67]
	s_mov_b32 s53, s43
	s_mov_b32 s71, s43
	s_mul_u64 s[90:91], s[90:91], s[34:35]
	s_sub_co_i32 s58, s6, s70
	s_add_nc_u64 s[44:45], s[78:79], s[44:45]
	s_add_nc_u64 s[46:47], s[46:47], s[50:51]
	s_mov_b32 s70, s59
	s_add_nc_u64 s[50:51], s[56:57], s[74:75]
	s_mov_b32 s80, s63
	s_mov_b32 s63, s43
	;; [unrolled: 1-line block ×3, first 2 shown]
	s_lshr_b64 s[44:45], s[44:45], 3
	s_add_nc_u64 s[46:47], s[68:69], s[46:47]
	s_add_nc_u64 s[52:53], s[52:53], s[70:71]
	s_mov_b32 s84, s51
	s_add_nc_u64 s[50:51], s[90:91], s[62:63]
	s_mul_i32 s66, s54, 15
	s_lshr_b64 s[54:55], s[60:61], 3
	s_mov_b32 s81, s43
	s_mov_b32 s83, s43
	s_sub_co_i32 s55, s6, s82
	s_mul_i32 s57, s44, 15
	s_lshr_b64 s[44:45], s[46:47], 3
	s_add_nc_u64 s[46:47], s[76:77], s[52:53]
	s_add_nc_u64 s[52:53], s[64:65], s[84:85]
	s_mov_b32 s82, s51
	s_mul_i32 s59, s44, 15
	s_lshr_b64 s[44:45], s[46:47], 3
	s_add_nc_u64 s[46:47], s[86:87], s[52:53]
	s_add_nc_u64 s[50:51], s[80:81], s[82:83]
	s_mul_i32 s53, s44, 15
	s_lshr_b64 s[44:45], s[46:47], 3
	s_add_nc_u64 s[46:47], s[48:49], s[50:51]
	s_mul_i32 s49, s44, 15
	s_lshr_b64 s[44:45], s[46:47], 3
	s_sub_co_i32 s33, s6, s33
	s_mul_i32 s44, s44, -15
	s_sub_co_i32 s46, s6, s49
	s_add_co_i32 m0, s6, s44
	s_sub_co_i32 s45, s6, s53
	s_wait_loadcnt 0x0
	v_movreld_b32_e32 v0, v15
	s_add_co_i32 m0, s33, 1
	s_sub_co_i32 s48, s6, s59
	v_movrels_b32_e32 v36, v0
	s_add_co_i32 m0, s46, 2
	s_sub_co_i32 s52, s6, s57
	v_movrels_b32_e32 v37, v0
	s_add_co_i32 m0, s45, 3
	v_fma_f32 v36, v16, v36, 0
	v_movrels_b32_e32 v38, v0
	s_add_co_i32 m0, s48, 4
	s_mul_i32 s54, s54, 15
	v_movrels_b32_e32 v39, v0
	v_fmac_f32_e32 v36, v17, v37
	s_add_co_i32 m0, s52, 5
	s_sub_co_i32 s54, s6, s54
	v_movrels_b32_e32 v40, v0
	s_add_co_i32 m0, s54, 6
	v_fmac_f32_e32 v36, v18, v38
	v_movrels_b32_e32 v41, v0
	s_sub_co_i32 s56, s6, s66
	s_sub_co_i32 s98, s6, s100
	s_add_co_i32 m0, s56, 7
	v_fmac_f32_e32 v36, v19, v39
	v_movrels_b32_e32 v37, v0
	s_add_co_i32 m0, s55, 8
	s_sub_co_i32 s96, s6, s104
	v_movrels_b32_e32 v42, v0
	v_fmac_f32_e32 v36, v20, v40
	s_add_co_i32 m0, s58, 9
	s_add_nc_u64 s[6:7], s[6:7], 1
	v_movrels_b32_e32 v38, v0
	s_add_co_i32 m0, s94, 10
	v_fmac_f32_e32 v36, v21, v41
	v_movrels_b32_e32 v43, v0
	s_add_co_i32 m0, s42, 11
	s_add_nc_u64 s[4:5], s[4:5], 1
	v_movrels_b32_e32 v44, v0
	v_fmac_f32_e32 v36, v22, v37
	s_add_co_i32 m0, s99, 12
	s_add_nc_u64 s[8:9], s[8:9], 1
	v_movrels_b32_e32 v39, v0
	s_add_co_i32 m0, s98, 13
	v_fmac_f32_e32 v36, v23, v42
	v_movrels_b32_e32 v45, v0
	s_add_co_i32 m0, s97, 14
	s_add_nc_u64 s[10:11], s[10:11], 1
	v_movrels_b32_e32 v40, v0
	v_fmac_f32_e32 v36, v24, v38
	s_add_co_i32 m0, s96, 15
	s_add_nc_u64 s[12:13], s[12:13], 1
	v_movrels_b32_e32 v15, v0
	s_add_nc_u64 s[14:15], s[14:15], 1
	v_fmac_f32_e32 v36, v25, v43
	s_add_nc_u64 s[16:17], s[16:17], 1
	s_add_nc_u64 s[18:19], s[18:19], 1
	;; [unrolled: 1-line block ×4, first 2 shown]
	v_fmac_f32_e32 v36, v26, v44
	s_add_nc_u64 s[24:25], s[24:25], 1
	s_add_nc_u64 s[26:27], s[26:27], 1
	;; [unrolled: 1-line block ×4, first 2 shown]
	v_fmac_f32_e32 v36, v27, v39
	s_add_nc_u64 s[38:39], s[38:39], 1
	s_wait_alu 0xfffe
	s_cmp_eq_u64 s[2:3], s[6:7]
	s_add_nc_u64 s[40:41], s[40:41], 1
	v_fmac_f32_e32 v36, v28, v45
	s_delay_alu instid0(VALU_DEP_1) | instskip(NEXT) | instid1(VALU_DEP_1)
	v_fmac_f32_e32 v36, v29, v40
	v_fmac_f32_e32 v36, v30, v15
	s_delay_alu instid0(VALU_DEP_1)
	v_add_f32_e32 v15, v35, v36
	global_store_b32 v[33:34], v15, off
	v_add_co_u32 v33, vcc_lo, v33, s0
	s_wait_alu 0xfffd
	v_add_co_ci_u32_e64 v34, null, s1, v34, vcc_lo
	s_cbranch_scc0 .LBB18_5
.LBB18_6:
	s_endpgm
	.section	.rodata,"a",@progbits
	.p2align	6, 0x0
	.amdhsa_kernel _ZL12ssm_conv_f32ILb0ELm128ELm15EEvPKfS1_S1_iiiiPfiiil
		.amdhsa_group_segment_fixed_size 0
		.amdhsa_private_segment_fixed_size 0
		.amdhsa_kernarg_size 72
		.amdhsa_user_sgpr_count 2
		.amdhsa_user_sgpr_dispatch_ptr 0
		.amdhsa_user_sgpr_queue_ptr 0
		.amdhsa_user_sgpr_kernarg_segment_ptr 1
		.amdhsa_user_sgpr_dispatch_id 0
		.amdhsa_user_sgpr_private_segment_size 0
		.amdhsa_wavefront_size32 1
		.amdhsa_uses_dynamic_stack 0
		.amdhsa_enable_private_segment 0
		.amdhsa_system_sgpr_workgroup_id_x 1
		.amdhsa_system_sgpr_workgroup_id_y 1
		.amdhsa_system_sgpr_workgroup_id_z 0
		.amdhsa_system_sgpr_workgroup_info 0
		.amdhsa_system_vgpr_workitem_id 0
		.amdhsa_next_free_vgpr 46
		.amdhsa_next_free_sgpr 105
		.amdhsa_reserve_vcc 1
		.amdhsa_float_round_mode_32 0
		.amdhsa_float_round_mode_16_64 0
		.amdhsa_float_denorm_mode_32 3
		.amdhsa_float_denorm_mode_16_64 3
		.amdhsa_fp16_overflow 0
		.amdhsa_workgroup_processor_mode 1
		.amdhsa_memory_ordered 1
		.amdhsa_forward_progress 1
		.amdhsa_inst_pref_size 19
		.amdhsa_round_robin_scheduling 0
		.amdhsa_exception_fp_ieee_invalid_op 0
		.amdhsa_exception_fp_denorm_src 0
		.amdhsa_exception_fp_ieee_div_zero 0
		.amdhsa_exception_fp_ieee_overflow 0
		.amdhsa_exception_fp_ieee_underflow 0
		.amdhsa_exception_fp_ieee_inexact 0
		.amdhsa_exception_int_div_zero 0
	.end_amdhsa_kernel
	.section	.text._ZL12ssm_conv_f32ILb0ELm128ELm15EEvPKfS1_S1_iiiiPfiiil,"axG",@progbits,_ZL12ssm_conv_f32ILb0ELm128ELm15EEvPKfS1_S1_iiiiPfiiil,comdat
.Lfunc_end18:
	.size	_ZL12ssm_conv_f32ILb0ELm128ELm15EEvPKfS1_S1_iiiiPfiiil, .Lfunc_end18-_ZL12ssm_conv_f32ILb0ELm128ELm15EEvPKfS1_S1_iiiiPfiiil
                                        ; -- End function
	.set _ZL12ssm_conv_f32ILb0ELm128ELm15EEvPKfS1_S1_iiiiPfiiil.num_vgpr, 46
	.set _ZL12ssm_conv_f32ILb0ELm128ELm15EEvPKfS1_S1_iiiiPfiiil.num_agpr, 0
	.set _ZL12ssm_conv_f32ILb0ELm128ELm15EEvPKfS1_S1_iiiiPfiiil.numbered_sgpr, 105
	.set _ZL12ssm_conv_f32ILb0ELm128ELm15EEvPKfS1_S1_iiiiPfiiil.num_named_barrier, 0
	.set _ZL12ssm_conv_f32ILb0ELm128ELm15EEvPKfS1_S1_iiiiPfiiil.private_seg_size, 0
	.set _ZL12ssm_conv_f32ILb0ELm128ELm15EEvPKfS1_S1_iiiiPfiiil.uses_vcc, 1
	.set _ZL12ssm_conv_f32ILb0ELm128ELm15EEvPKfS1_S1_iiiiPfiiil.uses_flat_scratch, 0
	.set _ZL12ssm_conv_f32ILb0ELm128ELm15EEvPKfS1_S1_iiiiPfiiil.has_dyn_sized_stack, 0
	.set _ZL12ssm_conv_f32ILb0ELm128ELm15EEvPKfS1_S1_iiiiPfiiil.has_recursion, 0
	.set _ZL12ssm_conv_f32ILb0ELm128ELm15EEvPKfS1_S1_iiiiPfiiil.has_indirect_call, 0
	.section	.AMDGPU.csdata,"",@progbits
; Kernel info:
; codeLenInByte = 2388
; TotalNumSgprs: 107
; NumVgprs: 46
; ScratchSize: 0
; MemoryBound: 0
; FloatMode: 240
; IeeeMode: 1
; LDSByteSize: 0 bytes/workgroup (compile time only)
; SGPRBlocks: 0
; VGPRBlocks: 5
; NumSGPRsForWavesPerEU: 107
; NumVGPRsForWavesPerEU: 46
; Occupancy: 16
; WaveLimiterHint : 0
; COMPUTE_PGM_RSRC2:SCRATCH_EN: 0
; COMPUTE_PGM_RSRC2:USER_SGPR: 2
; COMPUTE_PGM_RSRC2:TRAP_HANDLER: 0
; COMPUTE_PGM_RSRC2:TGID_X_EN: 1
; COMPUTE_PGM_RSRC2:TGID_Y_EN: 1
; COMPUTE_PGM_RSRC2:TGID_Z_EN: 0
; COMPUTE_PGM_RSRC2:TIDIG_COMP_CNT: 0
	.section	.text._ZL23ssm_conv_long_token_f32ILb0ELm128ELm15ELl32EEvPKfS1_S1_iiiiPfiiil,"axG",@progbits,_ZL23ssm_conv_long_token_f32ILb0ELm128ELm15ELl32EEvPKfS1_S1_iiiiPfiiil,comdat
	.globl	_ZL23ssm_conv_long_token_f32ILb0ELm128ELm15ELl32EEvPKfS1_S1_iiiiPfiiil ; -- Begin function _ZL23ssm_conv_long_token_f32ILb0ELm128ELm15ELl32EEvPKfS1_S1_iiiiPfiiil
	.p2align	8
	.type	_ZL23ssm_conv_long_token_f32ILb0ELm128ELm15ELl32EEvPKfS1_S1_iiiiPfiiil,@function
_ZL23ssm_conv_long_token_f32ILb0ELm128ELm15ELl32EEvPKfS1_S1_iiiiPfiiil: ; @_ZL23ssm_conv_long_token_f32ILb0ELm128ELm15ELl32EEvPKfS1_S1_iiiiPfiiil
; %bb.0:
	v_mul_u32_u24_e32 v1, 0x591, v0
	s_clause 0x1
	s_load_b128 s[4:7], s[0:1], 0x18
	s_load_b64 s[8:9], s[0:1], 0x0
	s_lshr_b32 s10, ttmp7, 11
	s_and_b32 s2, ttmp7, 0xffff
	v_lshrrev_b32_e32 v1, 16, v1
	s_and_b32 s12, s10, 0x1fffe0
	s_mov_b32 s3, 0
	s_lshl_b32 s2, s2, 7
	s_mov_b32 s13, s3
	v_mul_lo_u16 v2, v1, 46
	s_delay_alu instid0(VALU_DEP_1) | instskip(NEXT) | instid1(VALU_DEP_1)
	v_sub_nc_u16 v2, v0, v2
	v_or_b32_e32 v3, 0xffffff80, v2
	v_and_b32_e32 v2, 0xffff, v2
	s_wait_kmcnt 0x0
	s_mul_i32 s10, s6, ttmp9
	s_ashr_i32 s6, s5, 2
	s_ashr_i32 s15, s5, 31
	v_lshrrev_b16 v4, 1, v3
	s_mov_b32 s14, s5
	s_ashr_i32 s11, s10, 31
	s_ashr_i32 s17, s4, 31
	s_mov_b32 s16, s4
	v_and_b32_e32 v4, 0x7f, v4
	s_mul_u64 s[4:5], s[2:3], s[14:15]
	s_add_nc_u64 s[8:9], s[8:9], s[10:11]
	s_mul_u64 s[10:11], s[12:13], s[16:17]
	s_add_nc_u64 s[4:5], s[8:9], s[4:5]
	v_mul_lo_u16 v4, 0xb3, v4
	s_add_nc_u64 s[4:5], s[4:5], s[10:11]
	s_mov_b32 s8, exec_lo
	s_delay_alu instid0(VALU_DEP_1) | instskip(NEXT) | instid1(VALU_DEP_1)
	v_lshrrev_b16 v5, 12, v4
	v_mul_lo_u16 v4, v5, 46
	v_and_b32_e32 v5, 0xffff, v5
	s_delay_alu instid0(VALU_DEP_2) | instskip(NEXT) | instid1(VALU_DEP_2)
	v_sub_nc_u16 v6, v3, v4
	v_add_nc_u32_e32 v24, v1, v5
	s_delay_alu instid0(VALU_DEP_2) | instskip(SKIP_1) | instid1(VALU_DEP_2)
	v_or_b32_e32 v3, 0xffffff80, v6
	v_and_b32_e32 v5, 0xff, v6
	v_lshrrev_b16 v4, 1, v3
	s_delay_alu instid0(VALU_DEP_1) | instskip(NEXT) | instid1(VALU_DEP_1)
	v_and_b32_e32 v4, 0x7f, v4
	v_mul_lo_u16 v4, 0xb3, v4
	s_delay_alu instid0(VALU_DEP_1) | instskip(NEXT) | instid1(VALU_DEP_1)
	v_lshrrev_b16 v7, 12, v4
	v_mul_lo_u16 v4, v7, 46
	s_delay_alu instid0(VALU_DEP_1) | instskip(NEXT) | instid1(VALU_DEP_1)
	v_sub_nc_u16 v8, v3, v4
	v_or_b32_e32 v3, 0xffffff80, v8
	v_and_b32_e32 v8, 0xff, v8
	s_delay_alu instid0(VALU_DEP_2) | instskip(NEXT) | instid1(VALU_DEP_1)
	v_lshrrev_b16 v4, 1, v3
	v_and_b32_e32 v4, 0x7f, v4
	s_delay_alu instid0(VALU_DEP_1) | instskip(NEXT) | instid1(VALU_DEP_1)
	v_mul_lo_u16 v4, 0xb3, v4
	v_lshrrev_b16 v11, 12, v4
	s_delay_alu instid0(VALU_DEP_1) | instskip(SKIP_1) | instid1(VALU_DEP_2)
	v_mul_lo_u16 v4, v11, 46
	v_and_b32_e32 v11, 0xffff, v11
	v_sub_nc_u16 v12, v3, v4
	s_delay_alu instid0(VALU_DEP_1) | instskip(NEXT) | instid1(VALU_DEP_1)
	v_or_b32_e32 v3, 0xffffff80, v12
	v_lshrrev_b16 v4, 1, v3
	s_delay_alu instid0(VALU_DEP_1) | instskip(NEXT) | instid1(VALU_DEP_1)
	v_and_b32_e32 v4, 0x7f, v4
	v_mul_lo_u16 v4, 0xb3, v4
	s_delay_alu instid0(VALU_DEP_1) | instskip(NEXT) | instid1(VALU_DEP_1)
	v_lshrrev_b16 v13, 12, v4
	v_mul_lo_u16 v4, v13, 46
	s_delay_alu instid0(VALU_DEP_1) | instskip(NEXT) | instid1(VALU_DEP_1)
	v_sub_nc_u16 v14, v3, v4
	v_or_b32_e32 v3, 0xffffff80, v14
	s_delay_alu instid0(VALU_DEP_1) | instskip(NEXT) | instid1(VALU_DEP_1)
	v_lshrrev_b16 v4, 1, v3
	v_and_b32_e32 v4, 0x7f, v4
	s_delay_alu instid0(VALU_DEP_1) | instskip(NEXT) | instid1(VALU_DEP_1)
	v_mul_lo_u16 v4, 0xb3, v4
	v_lshrrev_b16 v15, 12, v4
	s_delay_alu instid0(VALU_DEP_1) | instskip(NEXT) | instid1(VALU_DEP_1)
	v_mul_lo_u16 v4, v15, 46
	v_sub_nc_u16 v16, v3, v4
	s_delay_alu instid0(VALU_DEP_1) | instskip(NEXT) | instid1(VALU_DEP_1)
	v_or_b32_e32 v3, 0xffffff80, v16
	v_lshrrev_b16 v4, 1, v3
	s_delay_alu instid0(VALU_DEP_1) | instskip(NEXT) | instid1(VALU_DEP_1)
	v_and_b32_e32 v4, 0x7f, v4
	v_mul_lo_u16 v4, 0xb3, v4
	s_delay_alu instid0(VALU_DEP_1) | instskip(NEXT) | instid1(VALU_DEP_1)
	v_lshrrev_b16 v17, 12, v4
	v_mul_lo_u16 v4, v17, 46
	s_delay_alu instid0(VALU_DEP_1) | instskip(NEXT) | instid1(VALU_DEP_1)
	v_sub_nc_u16 v18, v3, v4
	v_or_b32_e32 v3, 0xffffff80, v18
	s_delay_alu instid0(VALU_DEP_1) | instskip(NEXT) | instid1(VALU_DEP_1)
	v_lshrrev_b16 v4, 1, v3
	v_and_b32_e32 v4, 0x7f, v4
	s_delay_alu instid0(VALU_DEP_1) | instskip(NEXT) | instid1(VALU_DEP_1)
	v_mul_lo_u16 v4, 0xb3, v4
	v_lshrrev_b16 v19, 12, v4
	s_delay_alu instid0(VALU_DEP_1) | instskip(NEXT) | instid1(VALU_DEP_1)
	v_mul_lo_u16 v4, v19, 46
	v_sub_nc_u16 v20, v3, v4
	s_delay_alu instid0(VALU_DEP_1) | instskip(NEXT) | instid1(VALU_DEP_1)
	v_or_b32_e32 v3, 0xffffff80, v20
	v_lshrrev_b16 v4, 1, v3
	s_delay_alu instid0(VALU_DEP_1) | instskip(NEXT) | instid1(VALU_DEP_1)
	v_and_b32_e32 v4, 0x7f, v4
	v_mul_lo_u16 v4, 0xb3, v4
	s_delay_alu instid0(VALU_DEP_1) | instskip(NEXT) | instid1(VALU_DEP_1)
	v_lshrrev_b16 v21, 12, v4
	v_mul_lo_u16 v4, v21, 46
	s_delay_alu instid0(VALU_DEP_1) | instskip(NEXT) | instid1(VALU_DEP_1)
	v_sub_nc_u16 v22, v3, v4
	v_or_b32_e32 v9, 0xffffff80, v22
	s_delay_alu instid0(VALU_DEP_1) | instskip(NEXT) | instid1(VALU_DEP_1)
	v_lshrrev_b16 v3, 1, v9
	v_and_b32_e32 v10, 0x7f, v3
	v_mad_co_u64_u32 v[3:4], null, s6, v1, v[2:3]
	v_mul_u32_u24_e32 v1, 0xb8, v1
	v_lshlrev_b32_e32 v2, 2, v2
	s_delay_alu instid0(VALU_DEP_4) | instskip(NEXT) | instid1(VALU_DEP_2)
	v_mul_lo_u16 v10, 0xb3, v10
	v_add3_u32 v43, 0, v1, v2
	s_delay_alu instid0(VALU_DEP_2) | instskip(SKIP_3) | instid1(VALU_DEP_4)
	v_lshrrev_b16 v23, 12, v10
	v_ashrrev_i32_e32 v4, 31, v3
	v_and_b32_e32 v10, 0xffff, v7
	v_mad_co_u64_u32 v[6:7], null, v24, s6, v[5:6]
	v_mul_lo_u16 v25, v23, 46
	s_delay_alu instid0(VALU_DEP_4) | instskip(NEXT) | instid1(VALU_DEP_4)
	v_lshlrev_b64_e32 v[3:4], 2, v[3:4]
	v_add_nc_u32_e32 v26, v24, v10
	v_mul_u32_u24_e32 v2, 0xb8, v24
	v_and_b32_e32 v1, 0xff, v14
	v_sub_nc_u16 v25, v9, v25
	v_ashrrev_i32_e32 v7, 31, v6
	v_mad_co_u64_u32 v[9:10], null, v26, s6, v[8:9]
	v_add_co_u32 v3, vcc_lo, s4, v3
	s_delay_alu instid0(VALU_DEP_4) | instskip(SKIP_3) | instid1(VALU_DEP_4)
	v_or_b32_e32 v27, 0xffffff80, v25
	v_add_co_ci_u32_e64 v4, null, s5, v4, vcc_lo
	v_add_nc_u32_e32 v11, v26, v11
	v_ashrrev_i32_e32 v10, 31, v9
	v_lshrrev_b16 v29, 1, v27
	global_load_b32 v28, v[3:4], off
	v_lshlrev_b64_e32 v[3:4], 2, v[6:7]
	v_lshlrev_b32_e32 v8, 2, v8
	v_and_b32_e32 v6, 0x7f, v29
	s_delay_alu instid0(VALU_DEP_3) | instskip(NEXT) | instid1(VALU_DEP_2)
	v_add_co_u32 v3, vcc_lo, s4, v3
	v_mul_lo_u16 v29, 0xb3, v6
	v_lshlrev_b64_e32 v[6:7], 2, v[9:10]
	s_wait_alu 0xfffd
	v_add_co_ci_u32_e64 v4, null, s5, v4, vcc_lo
	s_delay_alu instid0(VALU_DEP_3) | instskip(NEXT) | instid1(VALU_DEP_3)
	v_lshrrev_b16 v29, 12, v29
	v_add_co_u32 v6, vcc_lo, s4, v6
	s_wait_alu 0xfffd
	v_add_co_ci_u32_e64 v7, null, s5, v7, vcc_lo
	s_clause 0x1
	global_load_b32 v30, v[3:4], off
	global_load_b32 v31, v[6:7], off
	v_and_b32_e32 v3, 0xff, v12
	s_delay_alu instid0(VALU_DEP_1) | instskip(SKIP_3) | instid1(VALU_DEP_3)
	v_mad_co_u64_u32 v[9:10], null, v11, s6, v[3:4]
	v_mul_lo_u16 v4, v29, 46
	v_lshlrev_b32_e32 v3, 2, v3
	v_and_b32_e32 v29, 0xffff, v29
	v_sub_nc_u16 v27, v27, v4
	v_ashrrev_i32_e32 v10, 31, v9
	s_delay_alu instid0(VALU_DEP_2) | instskip(NEXT) | instid1(VALU_DEP_2)
	v_or_b32_e32 v4, 0xffffff80, v27
	v_lshlrev_b64_e32 v[6:7], 2, v[9:10]
	v_mul_u32_u24_e32 v10, 0xb8, v26
	s_delay_alu instid0(VALU_DEP_3) | instskip(NEXT) | instid1(VALU_DEP_3)
	v_lshrrev_b16 v9, 1, v4
	v_add_co_u32 v6, vcc_lo, s4, v6
	s_wait_alu 0xfffd
	s_delay_alu instid0(VALU_DEP_4) | instskip(NEXT) | instid1(VALU_DEP_3)
	v_add_co_ci_u32_e64 v7, null, s5, v7, vcc_lo
	v_and_b32_e32 v9, 0x7f, v9
	v_add3_u32 v44, 0, v10, v8
	v_and_b32_e32 v8, 0xffff, v15
	global_load_b32 v32, v[6:7], off
	v_and_b32_e32 v10, 0xffff, v17
	v_mul_lo_u16 v6, 0xb3, v9
	v_lshlrev_b32_e32 v9, 2, v5
	v_and_b32_e32 v17, 0xffff, v19
	s_delay_alu instid0(VALU_DEP_3) | instskip(NEXT) | instid1(VALU_DEP_3)
	v_lshrrev_b16 v33, 12, v6
	v_add3_u32 v26, 0, v2, v9
	v_mul_u32_u24_e32 v9, 0xb8, v11
	s_delay_alu instid0(VALU_DEP_3) | instskip(NEXT) | instid1(VALU_DEP_2)
	v_mul_lo_u16 v6, v33, 46
	v_add3_u32 v45, 0, v9, v3
	v_and_b32_e32 v3, 0xff, v16
	s_delay_alu instid0(VALU_DEP_3) | instskip(NEXT) | instid1(VALU_DEP_1)
	v_sub_nc_u16 v34, v4, v6
	v_or_b32_e32 v4, 0xffffff80, v34
	s_delay_alu instid0(VALU_DEP_1) | instskip(NEXT) | instid1(VALU_DEP_1)
	v_lshrrev_b16 v6, 1, v4
	v_and_b32_e32 v6, 0x7f, v6
	s_delay_alu instid0(VALU_DEP_1) | instskip(NEXT) | instid1(VALU_DEP_1)
	v_mul_lo_u16 v6, 0xb3, v6
	v_lshrrev_b16 v35, 12, v6
	s_delay_alu instid0(VALU_DEP_1) | instskip(NEXT) | instid1(VALU_DEP_1)
	v_mul_lo_u16 v6, v35, 46
	v_sub_nc_u16 v36, v4, v6
	s_delay_alu instid0(VALU_DEP_1) | instskip(NEXT) | instid1(VALU_DEP_1)
	v_or_b32_e32 v4, 0xffffff80, v36
	v_lshrrev_b16 v6, 1, v4
	s_delay_alu instid0(VALU_DEP_1) | instskip(NEXT) | instid1(VALU_DEP_1)
	v_and_b32_e32 v6, 0x7f, v6
	v_mul_lo_u16 v6, 0xb3, v6
	s_delay_alu instid0(VALU_DEP_1) | instskip(NEXT) | instid1(VALU_DEP_1)
	v_lshrrev_b16 v37, 12, v6
	v_mul_lo_u16 v6, v37, 46
	s_delay_alu instid0(VALU_DEP_1) | instskip(NEXT) | instid1(VALU_DEP_1)
	v_sub_nc_u16 v38, v4, v6
	v_or_b32_e32 v4, 0xffffff80, v38
	s_delay_alu instid0(VALU_DEP_1) | instskip(NEXT) | instid1(VALU_DEP_1)
	v_lshrrev_b16 v6, 1, v4
	v_and_b32_e32 v6, 0x7f, v6
	s_delay_alu instid0(VALU_DEP_1) | instskip(NEXT) | instid1(VALU_DEP_1)
	v_mul_lo_u16 v6, 0xb3, v6
	v_lshrrev_b16 v39, 12, v6
	s_delay_alu instid0(VALU_DEP_1) | instskip(NEXT) | instid1(VALU_DEP_1)
	v_mul_lo_u16 v6, v39, 46
	v_sub_nc_u16 v40, v4, v6
	s_delay_alu instid0(VALU_DEP_1) | instskip(NEXT) | instid1(VALU_DEP_1)
	v_or_b32_e32 v4, 0xffffff80, v40
	v_lshrrev_b16 v6, 1, v4
	s_delay_alu instid0(VALU_DEP_1) | instskip(NEXT) | instid1(VALU_DEP_1)
	v_and_b32_e32 v6, 0x7f, v6
	v_mul_lo_u16 v6, 0xb3, v6
	s_delay_alu instid0(VALU_DEP_1) | instskip(NEXT) | instid1(VALU_DEP_1)
	v_lshrrev_b16 v41, 12, v6
	v_mul_lo_u16 v6, v41, 46
	s_delay_alu instid0(VALU_DEP_1) | instskip(SKIP_1) | instid1(VALU_DEP_2)
	v_sub_nc_u16 v42, v4, v6
	v_and_b32_e32 v4, 0xffff, v13
	v_or_b32_e32 v6, 0xffffff80, v42
	s_delay_alu instid0(VALU_DEP_2) | instskip(NEXT) | instid1(VALU_DEP_2)
	v_add_nc_u32_e32 v7, v11, v4
	v_lshrrev_b16 v12, 1, v6
	s_delay_alu instid0(VALU_DEP_2) | instskip(SKIP_2) | instid1(VALU_DEP_4)
	v_mad_co_u64_u32 v[4:5], null, v7, s6, v[1:2]
	v_add_nc_u32_e32 v8, v7, v8
	v_lshlrev_b32_e32 v1, 2, v1
	v_and_b32_e32 v2, 0x7f, v12
	s_delay_alu instid0(VALU_DEP_3) | instskip(SKIP_1) | instid1(VALU_DEP_3)
	v_add_nc_u32_e32 v9, v8, v10
	v_ashrrev_i32_e32 v5, 31, v4
	v_mul_lo_u16 v2, 0xb3, v2
	s_delay_alu instid0(VALU_DEP_2) | instskip(NEXT) | instid1(VALU_DEP_2)
	v_lshlrev_b64_e32 v[4:5], 2, v[4:5]
	v_lshrrev_b16 v46, 12, v2
	v_and_b32_e32 v2, 0xff, v18
	s_delay_alu instid0(VALU_DEP_2) | instskip(NEXT) | instid1(VALU_DEP_4)
	v_mul_lo_u16 v10, v46, 46
	v_mad_co_u64_u32 v[11:12], null, v8, s6, v[3:4]
	s_delay_alu instid0(VALU_DEP_3) | instskip(NEXT) | instid1(VALU_DEP_3)
	v_mad_co_u64_u32 v[13:14], null, v9, s6, v[2:3]
	v_sub_nc_u16 v47, v6, v10
	v_add_co_u32 v15, vcc_lo, s4, v4
	s_wait_alu 0xfffd
	v_add_co_ci_u32_e64 v16, null, s5, v5, vcc_lo
	v_ashrrev_i32_e32 v12, 31, v11
	v_or_b32_e32 v24, 0xffffff80, v47
	v_ashrrev_i32_e32 v14, 31, v13
	v_add_nc_u32_e32 v10, v9, v17
	v_and_b32_e32 v4, 0xff, v20
	v_lshlrev_b64_e32 v[5:6], 2, v[11:12]
	v_lshrrev_b16 v17, 1, v24
	v_lshlrev_b64_e32 v[11:12], 2, v[13:14]
	v_lshlrev_b32_e32 v3, 2, v3
	v_lshlrev_b32_e32 v2, 2, v2
	v_mad_co_u64_u32 v[13:14], null, v10, s6, v[4:5]
	v_and_b32_e32 v14, 0x7f, v17
	v_add_co_u32 v17, vcc_lo, s4, v5
	s_wait_alu 0xfffd
	v_add_co_ci_u32_e64 v18, null, s5, v6, vcc_lo
	s_delay_alu instid0(VALU_DEP_3) | instskip(SKIP_3) | instid1(VALU_DEP_4)
	v_mul_lo_u16 v6, 0xb3, v14
	v_and_b32_e32 v5, 0xffff, v21
	v_add_co_u32 v19, vcc_lo, s4, v11
	v_ashrrev_i32_e32 v14, 31, v13
	v_lshrrev_b16 v48, 12, v6
	v_and_b32_e32 v6, 0xffff, v23
	v_add_nc_u32_e32 v11, v10, v5
	v_and_b32_e32 v5, 0xff, v22
	s_wait_alu 0xfffd
	v_add_co_ci_u32_e64 v20, null, s5, v12, vcc_lo
	v_mul_lo_u16 v23, v48, 46
	v_add_nc_u32_e32 v12, v11, v6
	v_mad_co_u64_u32 v[21:22], null, v11, s6, v[5:6]
	v_and_b32_e32 v6, 0xff, v25
	s_delay_alu instid0(VALU_DEP_4) | instskip(SKIP_2) | instid1(VALU_DEP_4)
	v_sub_nc_u16 v49, v24, v23
	v_lshlrev_b64_e32 v[13:14], 2, v[13:14]
	v_add_nc_u32_e32 v72, v12, v29
	v_mad_co_u64_u32 v[23:24], null, v12, s6, v[6:7]
	s_delay_alu instid0(VALU_DEP_4) | instskip(NEXT) | instid1(VALU_DEP_4)
	v_or_b32_e32 v25, 0xffffff80, v49
	v_add_co_u32 v13, vcc_lo, s4, v13
	s_wait_alu 0xfffd
	v_add_co_ci_u32_e64 v14, null, s5, v14, vcc_lo
	s_delay_alu instid0(VALU_DEP_3)
	v_lshrrev_b16 v24, 1, v25
	s_clause 0x3
	global_load_b32 v68, v[15:16], off
	global_load_b32 v69, v[17:18], off
	;; [unrolled: 1-line block ×4, first 2 shown]
	v_and_b32_e32 v15, 0xff, v27
	v_and_b32_e32 v20, 0xffff, v33
	v_ashrrev_i32_e32 v22, 31, v21
	v_and_b32_e32 v16, 0x7f, v24
	v_ashrrev_i32_e32 v24, 31, v23
	v_mul_u32_u24_e32 v7, 0xb8, v7
	v_add_nc_u32_e32 v73, v72, v20
	v_and_b32_e32 v20, 0xff, v34
	v_mul_lo_u16 v16, 0xb3, v16
	v_lshlrev_b64_e32 v[13:14], 2, v[21:22]
	v_and_b32_e32 v34, 0xffff, v41
	v_add3_u32 v1, 0, v7, v1
	v_mad_co_u64_u32 v[21:22], null, v73, s6, v[20:21]
	v_lshrrev_b16 v50, 12, v16
	v_lshlrev_b64_e32 v[16:17], 2, v[23:24]
	v_and_b32_e32 v23, 0xffff, v35
	v_add_co_u32 v13, vcc_lo, s4, v13
	s_delay_alu instid0(VALU_DEP_4)
	v_and_b32_e32 v41, 0xffff, v50
	s_wait_alu 0xfffd
	v_add_co_ci_u32_e64 v14, null, s5, v14, vcc_lo
	v_mad_co_u64_u32 v[18:19], null, v72, s6, v[15:16]
	v_mul_lo_u16 v19, v50, 46
	s_wait_loadcnt 0x7
	ds_store_b32 v43, v28
	v_add_nc_u32_e32 v74, v73, v23
	v_and_b32_e32 v28, 0xffff, v37
	v_and_b32_e32 v23, 0xff, v36
	v_sub_nc_u16 v51, v25, v19
	v_ashrrev_i32_e32 v19, 31, v18
	v_add_co_u32 v16, vcc_lo, s4, v16
	v_add_nc_u32_e32 v75, v74, v28
	s_delay_alu instid0(VALU_DEP_4) | instskip(NEXT) | instid1(VALU_DEP_4)
	v_or_b32_e32 v27, 0xffffff80, v51
	v_lshlrev_b64_e32 v[18:19], 2, v[18:19]
	s_wait_alu 0xfffd
	v_add_co_ci_u32_e64 v17, null, s5, v17, vcc_lo
	v_mul_u32_u24_e32 v7, 0xb8, v8
	v_lshrrev_b16 v22, 1, v27
	v_mul_lo_u32 v8, 0xb8, v9
	s_wait_loadcnt 0x6
	ds_store_b32 v26, v30
	v_and_b32_e32 v30, 0xffff, v39
	v_add_co_u32 v18, vcc_lo, s4, v18
	v_and_b32_e32 v24, 0x7f, v22
	s_wait_loadcnt 0x5
	ds_store_b32 v44, v31
	v_add_nc_u32_e32 v76, v75, v30
	v_ashrrev_i32_e32 v22, 31, v21
	s_wait_alu 0xfffd
	v_add_co_ci_u32_e64 v19, null, s5, v19, vcc_lo
	v_mul_lo_u16 v26, 0xb3, v24
	v_add_nc_u32_e32 v77, v76, v34
	v_mad_co_u64_u32 v[24:25], null, v74, s6, v[23:24]
	v_lshlrev_b64_e32 v[21:22], 2, v[21:22]
	s_delay_alu instid0(VALU_DEP_4)
	v_lshrrev_b16 v43, 12, v26
	v_and_b32_e32 v26, 0xff, v38
	v_mul_lo_u32 v9, 0xb8, v10
	v_mul_lo_u32 v10, 0xb8, v11
	v_add3_u32 v3, 0, v7, v3
	v_mul_lo_u16 v29, v43, 46
	v_and_b32_e32 v43, 0xffff, v43
	v_ashrrev_i32_e32 v25, 31, v24
	v_add_co_u32 v21, vcc_lo, s4, v21
	s_delay_alu instid0(VALU_DEP_4) | instskip(SKIP_3) | instid1(VALU_DEP_4)
	v_sub_nc_u16 v44, v27, v29
	v_and_b32_e32 v29, 0xff, v40
	v_mad_co_u64_u32 v[27:28], null, v75, s6, v[26:27]
	v_lshlrev_b64_e32 v[24:25], 2, v[24:25]
	v_or_b32_e32 v38, 0xffffff80, v44
	s_delay_alu instid0(VALU_DEP_4) | instskip(SKIP_2) | instid1(VALU_DEP_3)
	v_mad_co_u64_u32 v[30:31], null, v76, s6, v[29:30]
	s_wait_alu 0xfffd
	v_add_co_ci_u32_e64 v22, null, s5, v22, vcc_lo
	v_lshrrev_b16 v33, 1, v38
	s_wait_loadcnt 0x4
	ds_store_b32 v45, v32
	v_and_b32_e32 v32, 0xff, v42
	v_ashrrev_i32_e32 v28, 31, v27
	v_add_co_u32 v24, vcc_lo, s4, v24
	v_and_b32_e32 v31, 0x7f, v33
	s_delay_alu instid0(VALU_DEP_4) | instskip(SKIP_2) | instid1(VALU_DEP_4)
	v_mad_co_u64_u32 v[33:34], null, v77, s6, v[32:33]
	v_and_b32_e32 v34, 0xffff, v46
	v_lshlrev_b64_e32 v[27:28], 2, v[27:28]
	v_mul_lo_u16 v35, 0xb3, v31
	v_ashrrev_i32_e32 v31, 31, v30
	s_wait_alu 0xfffd
	v_add_co_ci_u32_e64 v25, null, s5, v25, vcc_lo
	v_add_nc_u32_e32 v78, v77, v34
	v_lshrrev_b16 v52, 12, v35
	v_and_b32_e32 v35, 0xff, v47
	v_ashrrev_i32_e32 v34, 31, v33
	v_lshlrev_b64_e32 v[30:31], 2, v[30:31]
	v_add_co_u32 v27, vcc_lo, s4, v27
	v_mul_lo_u16 v39, v52, 46
	v_mad_co_u64_u32 v[36:37], null, v78, s6, v[35:36]
	v_and_b32_e32 v37, 0xffff, v48
	v_lshlrev_b64_e32 v[33:34], 2, v[33:34]
	s_delay_alu instid0(VALU_DEP_4)
	v_sub_nc_u16 v47, v38, v39
	v_and_b32_e32 v38, 0xff, v49
	s_wait_alu 0xfffd
	v_add_co_ci_u32_e64 v28, null, s5, v28, vcc_lo
	v_add_nc_u32_e32 v79, v78, v37
	v_or_b32_e32 v48, 0xffffff80, v47
	v_and_b32_e32 v47, 0xff, v47
	v_ashrrev_i32_e32 v37, 31, v36
	v_add_co_u32 v30, vcc_lo, s4, v30
	v_mad_co_u64_u32 v[39:40], null, v79, s6, v[38:39]
	v_lshrrev_b16 v40, 1, v48
	v_add_nc_u32_e32 v80, v79, v41
	v_lshlrev_b64_e32 v[36:37], 2, v[36:37]
	s_wait_alu 0xfffd
	v_add_co_ci_u32_e64 v31, null, s5, v31, vcc_lo
	v_and_b32_e32 v42, 0x7f, v40
	v_add_nc_u32_e32 v81, v80, v43
	v_ashrrev_i32_e32 v40, 31, v39
	v_add_co_u32 v33, vcc_lo, s4, v33
	s_delay_alu instid0(VALU_DEP_4) | instskip(SKIP_1) | instid1(VALU_DEP_4)
	v_mul_lo_u16 v41, 0xb3, v42
	v_and_b32_e32 v42, 0xff, v44
	v_lshlrev_b64_e32 v[39:40], 2, v[39:40]
	s_wait_alu 0xfffd
	v_add_co_ci_u32_e64 v34, null, s5, v34, vcc_lo
	v_lshrrev_b16 v49, 12, v41
	v_and_b32_e32 v41, 0xff, v51
	v_add_co_u32 v36, vcc_lo, s4, v36
	s_wait_alu 0xfffd
	v_add_co_ci_u32_e64 v37, null, s5, v37, vcc_lo
	v_mul_lo_u16 v50, v49, 46
	v_mad_co_u64_u32 v[43:44], null, v80, s6, v[41:42]
	v_and_b32_e32 v51, 0xffff, v49
	v_add_co_u32 v39, vcc_lo, s4, v39
	s_delay_alu instid0(VALU_DEP_4) | instskip(SKIP_3) | instid1(VALU_DEP_3)
	v_sub_nc_u16 v50, v48, v50
	s_wait_alu 0xfffd
	v_add_co_ci_u32_e64 v40, null, s5, v40, vcc_lo
	v_mad_co_u64_u32 v[45:46], null, v81, s6, v[42:43]
	v_or_b32_e32 v53, 0xffffff80, v50
	v_and_b32_e32 v46, 0xffff, v52
	v_and_b32_e32 v50, 0xff, v50
	v_ashrrev_i32_e32 v44, 31, v43
	v_add3_u32 v2, 0, v8, v2
	v_lshrrev_b16 v52, 1, v53
	v_add_nc_u32_e32 v82, v81, v46
	v_ashrrev_i32_e32 v46, 31, v45
	v_lshlrev_b64_e32 v[43:44], 2, v[43:44]
	v_lshlrev_b32_e32 v6, 2, v6
	v_and_b32_e32 v54, 0x7f, v52
	v_add_nc_u32_e32 v83, v82, v51
	v_mad_co_u64_u32 v[48:49], null, v82, s6, v[47:48]
	v_lshlrev_b64_e32 v[45:46], 2, v[45:46]
	s_delay_alu instid0(VALU_DEP_4) | instskip(NEXT) | instid1(VALU_DEP_4)
	v_mul_lo_u16 v54, 0xb3, v54
	v_mad_co_u64_u32 v[51:52], null, v83, s6, v[50:51]
	v_add_co_u32 v43, vcc_lo, s4, v43
	s_delay_alu instid0(VALU_DEP_3)
	v_lshrrev_b16 v54, 12, v54
	v_ashrrev_i32_e32 v49, 31, v48
	s_wait_alu 0xfffd
	v_add_co_ci_u32_e64 v44, null, s5, v44, vcc_lo
	v_ashrrev_i32_e32 v52, 31, v51
	v_mul_lo_u16 v55, v54, 46
	v_and_b32_e32 v54, 0xffff, v54
	v_lshlrev_b64_e32 v[48:49], 2, v[48:49]
	v_add_co_u32 v45, vcc_lo, s4, v45
	s_delay_alu instid0(VALU_DEP_4) | instskip(NEXT) | instid1(VALU_DEP_4)
	v_sub_nc_u16 v56, v53, v55
	v_add_nc_u32_e32 v84, v83, v54
	v_lshlrev_b64_e32 v[51:52], 2, v[51:52]
	s_wait_alu 0xfffd
	v_add_co_ci_u32_e64 v46, null, s5, v46, vcc_lo
	v_and_b32_e32 v53, 0xff, v56
	v_or_b32_e32 v56, 0xffffff80, v56
	v_add_co_u32 v48, vcc_lo, s4, v48
	s_wait_alu 0xfffd
	v_add_co_ci_u32_e64 v49, null, s5, v49, vcc_lo
	s_delay_alu instid0(VALU_DEP_3) | instskip(SKIP_2) | instid1(VALU_DEP_3)
	v_lshrrev_b16 v57, 1, v56
	v_mad_co_u64_u32 v[54:55], null, v84, s6, v[53:54]
	v_add_co_u32 v51, vcc_lo, s4, v51
	v_and_b32_e32 v57, 0x7f, v57
	s_wait_alu 0xfffd
	v_add_co_ci_u32_e64 v52, null, s5, v52, vcc_lo
	v_mul_lo_u32 v7, 0xb8, v75
	v_ashrrev_i32_e32 v55, 31, v54
	v_mul_lo_u16 v57, 0xb3, v57
	v_lshlrev_b32_e32 v8, 2, v26
	s_delay_alu instid0(VALU_DEP_3) | instskip(NEXT) | instid1(VALU_DEP_3)
	v_lshlrev_b64_e32 v[54:55], 2, v[54:55]
	v_lshrrev_b16 v57, 12, v57
	s_delay_alu instid0(VALU_DEP_1) | instskip(NEXT) | instid1(VALU_DEP_3)
	v_mul_lo_u16 v58, v57, 46
	v_add_co_u32 v54, vcc_lo, s4, v54
	s_wait_alu 0xfffd
	s_delay_alu instid0(VALU_DEP_4) | instskip(NEXT) | instid1(VALU_DEP_3)
	v_add_co_ci_u32_e64 v55, null, s5, v55, vcc_lo
	v_sub_nc_u16 v59, v56, v58
	v_and_b32_e32 v56, 0xffff, v57
	s_delay_alu instid0(VALU_DEP_1) | instskip(NEXT) | instid1(VALU_DEP_3)
	v_add_nc_u32_e32 v85, v84, v56
	v_and_b32_e32 v56, 0xff, v59
	v_or_b32_e32 v59, 0xffffff80, v59
	s_delay_alu instid0(VALU_DEP_2) | instskip(NEXT) | instid1(VALU_DEP_2)
	v_mad_co_u64_u32 v[57:58], null, v85, s6, v[56:57]
	v_lshrrev_b16 v60, 1, v59
	s_delay_alu instid0(VALU_DEP_1) | instskip(NEXT) | instid1(VALU_DEP_3)
	v_and_b32_e32 v60, 0x7f, v60
	v_ashrrev_i32_e32 v58, 31, v57
	s_delay_alu instid0(VALU_DEP_2) | instskip(NEXT) | instid1(VALU_DEP_2)
	v_mul_lo_u16 v60, 0xb3, v60
	v_lshlrev_b64_e32 v[57:58], 2, v[57:58]
	s_delay_alu instid0(VALU_DEP_2) | instskip(NEXT) | instid1(VALU_DEP_2)
	v_lshrrev_b16 v60, 12, v60
	v_add_co_u32 v57, vcc_lo, s4, v57
	s_wait_alu 0xfffd
	s_delay_alu instid0(VALU_DEP_3) | instskip(NEXT) | instid1(VALU_DEP_3)
	v_add_co_ci_u32_e64 v58, null, s5, v58, vcc_lo
	v_mul_lo_u16 v61, v60, 46
	s_delay_alu instid0(VALU_DEP_1) | instskip(SKIP_1) | instid1(VALU_DEP_1)
	v_sub_nc_u16 v62, v59, v61
	v_and_b32_e32 v59, 0xffff, v60
	v_add_nc_u32_e32 v86, v85, v59
	s_delay_alu instid0(VALU_DEP_3) | instskip(SKIP_1) | instid1(VALU_DEP_2)
	v_and_b32_e32 v59, 0xff, v62
	v_or_b32_e32 v62, 0xffffff80, v62
	v_mad_co_u64_u32 v[60:61], null, v86, s6, v[59:60]
	s_delay_alu instid0(VALU_DEP_2) | instskip(NEXT) | instid1(VALU_DEP_1)
	v_lshrrev_b16 v63, 1, v62
	v_and_b32_e32 v63, 0x7f, v63
	s_delay_alu instid0(VALU_DEP_3) | instskip(NEXT) | instid1(VALU_DEP_2)
	v_ashrrev_i32_e32 v61, 31, v60
	v_mul_lo_u16 v63, 0xb3, v63
	s_delay_alu instid0(VALU_DEP_2) | instskip(NEXT) | instid1(VALU_DEP_2)
	v_lshlrev_b64_e32 v[60:61], 2, v[60:61]
	v_lshrrev_b16 v63, 12, v63
	s_delay_alu instid0(VALU_DEP_2) | instskip(SKIP_1) | instid1(VALU_DEP_3)
	v_add_co_u32 v60, vcc_lo, s4, v60
	s_wait_alu 0xfffd
	v_add_co_ci_u32_e64 v61, null, s5, v61, vcc_lo
	s_delay_alu instid0(VALU_DEP_3) | instskip(NEXT) | instid1(VALU_DEP_1)
	v_mul_lo_u16 v64, v63, 46
	v_sub_nc_u16 v65, v62, v64
	v_and_b32_e32 v62, 0xffff, v63
	s_delay_alu instid0(VALU_DEP_1) | instskip(NEXT) | instid1(VALU_DEP_3)
	v_add_nc_u32_e32 v87, v86, v62
	v_and_b32_e32 v62, 0xff, v65
	v_or_b32_e32 v65, 0xffffff80, v65
	s_delay_alu instid0(VALU_DEP_2) | instskip(NEXT) | instid1(VALU_DEP_2)
	v_mad_co_u64_u32 v[63:64], null, v87, s6, v[62:63]
	v_lshrrev_b16 v66, 1, v65
	s_delay_alu instid0(VALU_DEP_1) | instskip(NEXT) | instid1(VALU_DEP_3)
	v_and_b32_e32 v66, 0x7f, v66
	v_ashrrev_i32_e32 v64, 31, v63
	s_delay_alu instid0(VALU_DEP_2) | instskip(NEXT) | instid1(VALU_DEP_2)
	v_mul_lo_u16 v66, 0xb3, v66
	v_lshlrev_b64_e32 v[63:64], 2, v[63:64]
	s_delay_alu instid0(VALU_DEP_2) | instskip(NEXT) | instid1(VALU_DEP_2)
	v_lshrrev_b16 v66, 12, v66
	v_add_co_u32 v63, vcc_lo, s4, v63
	s_wait_alu 0xfffd
	s_delay_alu instid0(VALU_DEP_3) | instskip(NEXT) | instid1(VALU_DEP_3)
	v_add_co_ci_u32_e64 v64, null, s5, v64, vcc_lo
	v_mul_lo_u16 v67, v66, 46
	s_delay_alu instid0(VALU_DEP_1) | instskip(SKIP_1) | instid1(VALU_DEP_1)
	v_sub_nc_u16 v88, v65, v67
	v_and_b32_e32 v65, 0xffff, v66
	v_add_nc_u32_e32 v89, v87, v65
	s_delay_alu instid0(VALU_DEP_3) | instskip(NEXT) | instid1(VALU_DEP_1)
	v_and_b32_e32 v65, 0xff, v88
	v_mad_co_u64_u32 v[66:67], null, v89, s6, v[65:66]
	s_delay_alu instid0(VALU_DEP_1) | instskip(NEXT) | instid1(VALU_DEP_1)
	v_ashrrev_i32_e32 v67, 31, v66
	v_lshlrev_b64_e32 v[66:67], 2, v[66:67]
	s_delay_alu instid0(VALU_DEP_1) | instskip(SKIP_1) | instid1(VALU_DEP_2)
	v_add_co_u32 v66, vcc_lo, s4, v66
	s_wait_alu 0xfffd
	v_add_co_ci_u32_e64 v67, null, s5, v67, vcc_lo
	s_clause 0x12
	global_load_b32 v13, v[13:14], off
	global_load_b32 v14, v[16:17], off
	;; [unrolled: 1-line block ×19, first 2 shown]
	s_wait_loadcnt 0x16
	ds_store_b32 v1, v68
	v_lshlrev_b32_e32 v1, 2, v4
	v_lshlrev_b32_e32 v4, 2, v5
	v_mul_lo_u32 v5, 0xb8, v12
	s_delay_alu instid0(VALU_DEP_3) | instskip(NEXT) | instid1(VALU_DEP_3)
	v_add3_u32 v1, 0, v9, v1
	v_add3_u32 v4, 0, v10, v4
	v_lshlrev_b32_e32 v9, 2, v62
	v_lshlrev_b32_e32 v10, 2, v65
	s_wait_loadcnt 0x15
	ds_store_b32 v3, v69
	s_wait_loadcnt 0x14
	ds_store_b32 v2, v70
	;; [unrolled: 2-line block ×4, first 2 shown]
	v_mul_lo_u32 v2, 0xb8, v72
	v_mul_lo_u32 v4, 0xb8, v73
	v_add3_u32 v1, 0, v5, v6
	v_lshlrev_b32_e32 v3, 2, v15
	v_lshlrev_b32_e32 v5, 2, v20
	v_mul_lo_u32 v6, 0xb8, v74
	s_wait_loadcnt 0x11
	ds_store_b32 v1, v14
	v_lshlrev_b32_e32 v1, 2, v23
	v_add3_u32 v2, 0, v2, v3
	v_add3_u32 v3, 0, v4, v5
	v_mul_lo_u32 v4, 0xb8, v76
	v_add3_u32 v5, 0, v7, v8
	v_add3_u32 v1, 0, v6, v1
	v_lshlrev_b32_e32 v6, 2, v29
	s_wait_loadcnt 0x10
	ds_store_b32 v2, v16
	s_wait_loadcnt 0xf
	ds_store_b32 v3, v17
	;; [unrolled: 2-line block ×4, first 2 shown]
	v_mul_lo_u32 v2, 0xb8, v77
	v_mul_lo_u32 v5, 0xb8, v79
	v_add3_u32 v1, 0, v4, v6
	v_mul_lo_u32 v4, 0xb8, v78
	v_mul_lo_u32 v7, 0xb8, v80
	v_lshlrev_b32_e32 v3, 2, v32
	v_lshlrev_b32_e32 v6, 2, v35
	;; [unrolled: 1-line block ×3, first 2 shown]
	s_wait_loadcnt 0xc
	ds_store_b32 v1, v21
	v_lshlrev_b32_e32 v1, 2, v41
	v_add3_u32 v2, 0, v2, v3
	v_add3_u32 v3, 0, v4, v6
	;; [unrolled: 1-line block ×3, first 2 shown]
	v_mul_lo_u32 v5, 0xb8, v81
	v_add3_u32 v1, 0, v7, v1
	s_wait_loadcnt 0xb
	ds_store_b32 v2, v22
	s_wait_loadcnt 0xa
	ds_store_b32 v3, v24
	;; [unrolled: 2-line block ×4, first 2 shown]
	v_or_b32_e32 v1, 0xffffff80, v88
	v_lshlrev_b32_e32 v2, 2, v42
	v_mul_lo_u32 v3, 0xb8, v82
	v_mul_lo_u32 v7, 0xb8, v84
	v_lshlrev_b32_e32 v4, 2, v47
	v_lshrrev_b16 v6, 1, v1
	v_add3_u32 v2, 0, v5, v2
	v_mul_lo_u32 v5, 0xb8, v83
	v_lshlrev_b32_e32 v8, 2, v50
	s_delay_alu instid0(VALU_DEP_4)
	v_and_b32_e32 v6, 0x7f, v6
	s_wait_loadcnt 0x7
	ds_store_b32 v2, v28
	v_lshlrev_b32_e32 v2, 2, v53
	v_add3_u32 v3, 0, v3, v4
	v_mul_lo_u16 v6, 0xb3, v6
	v_add3_u32 v4, 0, v5, v8
	v_mul_lo_u32 v5, 0xb8, v85
	v_add3_u32 v2, 0, v7, v2
	v_lshlrev_b32_e32 v7, 2, v56
	s_wait_loadcnt 0x6
	ds_store_b32 v3, v30
	s_wait_loadcnt 0x5
	ds_store_b32 v4, v31
	;; [unrolled: 2-line block ×3, first 2 shown]
	v_lshrrev_b16 v2, 12, v6
	v_mul_lo_u32 v4, 0xb8, v86
	v_mul_lo_u32 v6, 0xb8, v89
	v_add3_u32 v3, 0, v5, v7
	v_mul_lo_u32 v5, 0xb8, v87
	v_mul_lo_u16 v7, v2, 46
	v_and_b32_e32 v2, 0xffff, v2
	v_lshlrev_b32_e32 v8, 2, v59
	s_delay_alu instid0(VALU_DEP_3) | instskip(NEXT) | instid1(VALU_DEP_3)
	v_sub_nc_u16 v1, v1, v7
	v_add_nc_u32_e32 v2, v89, v2
	s_delay_alu instid0(VALU_DEP_3)
	v_add3_u32 v4, 0, v4, v8
	v_add3_u32 v5, 0, v5, v9
	v_add3_u32 v6, 0, v6, v10
	v_and_b32_e32 v1, 0xff, v1
	s_wait_loadcnt 0x3
	ds_store_b32 v3, v34
	s_wait_loadcnt 0x2
	ds_store_b32 v4, v36
	;; [unrolled: 2-line block ×4, first 2 shown]
	v_cmpx_gt_u32_e32 0x80, v2
	s_cbranch_execz .LBB19_2
; %bb.1:
	v_mad_co_u64_u32 v[3:4], null, v2, s6, v[1:2]
	v_lshlrev_b32_e32 v5, 2, v1
	s_delay_alu instid0(VALU_DEP_2) | instskip(NEXT) | instid1(VALU_DEP_1)
	v_ashrrev_i32_e32 v4, 31, v3
	v_lshlrev_b64_e32 v[3:4], 2, v[3:4]
	s_delay_alu instid0(VALU_DEP_1) | instskip(SKIP_1) | instid1(VALU_DEP_2)
	v_add_co_u32 v3, vcc_lo, s4, v3
	s_wait_alu 0xfffd
	v_add_co_ci_u32_e64 v4, null, s5, v4, vcc_lo
	global_load_b32 v3, v[3:4], off
	v_mul_lo_u32 v4, 0xb8, v2
	s_delay_alu instid0(VALU_DEP_1)
	v_add3_u32 v4, 0, v4, v5
	s_wait_loadcnt 0x0
	ds_store_b32 v4, v3
.LBB19_2:
	s_or_b32 exec_lo, exec_lo, s8
	v_or_b32_e32 v1, 0xffffff80, v1
	s_mov_b32 s8, exec_lo
	s_delay_alu instid0(VALU_DEP_1) | instskip(NEXT) | instid1(VALU_DEP_1)
	v_lshrrev_b16 v3, 1, v1
	v_and_b32_e32 v3, 0x7f, v3
	s_delay_alu instid0(VALU_DEP_1) | instskip(NEXT) | instid1(VALU_DEP_1)
	v_mul_lo_u16 v3, 0xb3, v3
	v_lshrrev_b16 v3, 12, v3
	s_delay_alu instid0(VALU_DEP_1) | instskip(SKIP_1) | instid1(VALU_DEP_2)
	v_mul_lo_u16 v4, v3, 46
	v_and_b32_e32 v3, 0xffff, v3
	v_sub_nc_u16 v1, v1, v4
	s_delay_alu instid0(VALU_DEP_2) | instskip(NEXT) | instid1(VALU_DEP_2)
	v_add_nc_u32_e32 v2, v2, v3
	v_and_b32_e32 v1, 0xff, v1
	s_delay_alu instid0(VALU_DEP_2)
	v_cmpx_gt_u32_e32 0x80, v2
	s_cbranch_execz .LBB19_4
; %bb.3:
	s_delay_alu instid0(VALU_DEP_2) | instskip(SKIP_1) | instid1(VALU_DEP_2)
	v_mad_co_u64_u32 v[3:4], null, v2, s6, v[1:2]
	v_lshlrev_b32_e32 v5, 2, v1
	v_ashrrev_i32_e32 v4, 31, v3
	s_delay_alu instid0(VALU_DEP_1) | instskip(NEXT) | instid1(VALU_DEP_1)
	v_lshlrev_b64_e32 v[3:4], 2, v[3:4]
	v_add_co_u32 v3, vcc_lo, s4, v3
	s_wait_alu 0xfffd
	s_delay_alu instid0(VALU_DEP_2) | instskip(SKIP_2) | instid1(VALU_DEP_1)
	v_add_co_ci_u32_e64 v4, null, s5, v4, vcc_lo
	global_load_b32 v3, v[3:4], off
	v_mul_lo_u32 v4, 0xb8, v2
	v_add3_u32 v4, 0, v4, v5
	s_wait_loadcnt 0x0
	ds_store_b32 v4, v3
.LBB19_4:
	s_or_b32 exec_lo, exec_lo, s8
	s_delay_alu instid0(VALU_DEP_2) | instskip(SKIP_1) | instid1(VALU_DEP_1)
	v_or_b32_e32 v1, 0xffffff80, v1
	s_mov_b32 s8, exec_lo
	v_lshrrev_b16 v3, 1, v1
	s_delay_alu instid0(VALU_DEP_1) | instskip(NEXT) | instid1(VALU_DEP_1)
	v_and_b32_e32 v3, 0x7f, v3
	v_mul_lo_u16 v3, 0xb3, v3
	s_delay_alu instid0(VALU_DEP_1) | instskip(NEXT) | instid1(VALU_DEP_1)
	v_lshrrev_b16 v3, 12, v3
	v_mul_lo_u16 v4, v3, 46
	v_and_b32_e32 v3, 0xffff, v3
	s_delay_alu instid0(VALU_DEP_2) | instskip(NEXT) | instid1(VALU_DEP_2)
	v_sub_nc_u16 v1, v1, v4
	v_add_nc_u32_e32 v2, v2, v3
	s_delay_alu instid0(VALU_DEP_2) | instskip(NEXT) | instid1(VALU_DEP_2)
	v_and_b32_e32 v1, 0xff, v1
	v_cmpx_gt_u32_e32 0x80, v2
	s_cbranch_execz .LBB19_6
; %bb.5:
	s_delay_alu instid0(VALU_DEP_2) | instskip(SKIP_1) | instid1(VALU_DEP_2)
	v_mad_co_u64_u32 v[3:4], null, v2, s6, v[1:2]
	v_lshlrev_b32_e32 v5, 2, v1
	v_ashrrev_i32_e32 v4, 31, v3
	s_delay_alu instid0(VALU_DEP_1) | instskip(NEXT) | instid1(VALU_DEP_1)
	v_lshlrev_b64_e32 v[3:4], 2, v[3:4]
	v_add_co_u32 v3, vcc_lo, s4, v3
	s_wait_alu 0xfffd
	s_delay_alu instid0(VALU_DEP_2) | instskip(SKIP_2) | instid1(VALU_DEP_1)
	v_add_co_ci_u32_e64 v4, null, s5, v4, vcc_lo
	global_load_b32 v3, v[3:4], off
	v_mul_lo_u32 v4, 0xb8, v2
	v_add3_u32 v4, 0, v4, v5
	s_wait_loadcnt 0x0
	ds_store_b32 v4, v3
.LBB19_6:
	s_or_b32 exec_lo, exec_lo, s8
	s_delay_alu instid0(VALU_DEP_2) | instskip(SKIP_1) | instid1(VALU_DEP_1)
	v_or_b32_e32 v1, 0xffffff80, v1
	s_mov_b32 s8, exec_lo
	v_lshrrev_b16 v3, 1, v1
	s_delay_alu instid0(VALU_DEP_1) | instskip(NEXT) | instid1(VALU_DEP_1)
	v_and_b32_e32 v3, 0x7f, v3
	v_mul_lo_u16 v3, 0xb3, v3
	s_delay_alu instid0(VALU_DEP_1) | instskip(NEXT) | instid1(VALU_DEP_1)
	v_lshrrev_b16 v3, 12, v3
	v_mul_lo_u16 v4, v3, 46
	v_and_b32_e32 v3, 0xffff, v3
	s_delay_alu instid0(VALU_DEP_2) | instskip(NEXT) | instid1(VALU_DEP_2)
	v_sub_nc_u16 v1, v1, v4
	v_add_nc_u32_e32 v2, v2, v3
	s_delay_alu instid0(VALU_DEP_2) | instskip(NEXT) | instid1(VALU_DEP_2)
	v_and_b32_e32 v1, 0xff, v1
	;; [unrolled: 36-line block ×10, first 2 shown]
	v_cmpx_gt_u32_e32 0x80, v2
	s_cbranch_execz .LBB19_24
; %bb.23:
	s_delay_alu instid0(VALU_DEP_2) | instskip(SKIP_1) | instid1(VALU_DEP_2)
	v_mad_co_u64_u32 v[3:4], null, v2, s6, v[1:2]
	v_lshlrev_b32_e32 v5, 2, v1
	v_ashrrev_i32_e32 v4, 31, v3
	s_delay_alu instid0(VALU_DEP_1) | instskip(NEXT) | instid1(VALU_DEP_1)
	v_lshlrev_b64_e32 v[3:4], 2, v[3:4]
	v_add_co_u32 v3, vcc_lo, s4, v3
	s_wait_alu 0xfffd
	s_delay_alu instid0(VALU_DEP_2) | instskip(SKIP_2) | instid1(VALU_DEP_1)
	v_add_co_ci_u32_e64 v4, null, s5, v4, vcc_lo
	global_load_b32 v3, v[3:4], off
	v_mul_lo_u32 v4, 0xb8, v2
	v_add3_u32 v4, 0, v4, v5
	s_wait_loadcnt 0x0
	ds_store_b32 v4, v3
.LBB19_24:
	s_or_b32 exec_lo, exec_lo, s8
	s_delay_alu instid0(SALU_CYCLE_1)
	s_mov_b32 s8, exec_lo
	v_cmpx_gt_u32_e32 0x380, v0
	s_cbranch_execz .LBB19_45
; %bb.25:
	v_or_b32_e32 v1, 0xffffff80, v1
	s_mov_b32 s9, exec_lo
	s_delay_alu instid0(VALU_DEP_1) | instskip(NEXT) | instid1(VALU_DEP_1)
	v_lshrrev_b16 v3, 1, v1
	v_and_b32_e32 v3, 0x7f, v3
	s_delay_alu instid0(VALU_DEP_1) | instskip(NEXT) | instid1(VALU_DEP_1)
	v_mul_lo_u16 v3, 0xb3, v3
	v_lshrrev_b16 v3, 12, v3
	s_delay_alu instid0(VALU_DEP_1) | instskip(SKIP_1) | instid1(VALU_DEP_2)
	v_mul_lo_u16 v4, v3, 46
	v_and_b32_e32 v3, 0xffff, v3
	v_sub_nc_u16 v1, v1, v4
	s_delay_alu instid0(VALU_DEP_2) | instskip(NEXT) | instid1(VALU_DEP_2)
	v_add_nc_u32_e32 v2, v2, v3
	v_and_b32_e32 v1, 0xff, v1
	s_delay_alu instid0(VALU_DEP_2)
	v_cmpx_gt_u32_e32 0x80, v2
	s_cbranch_execz .LBB19_27
; %bb.26:
	s_delay_alu instid0(VALU_DEP_2) | instskip(SKIP_1) | instid1(VALU_DEP_2)
	v_mad_co_u64_u32 v[3:4], null, v2, s6, v[1:2]
	v_lshlrev_b32_e32 v5, 2, v1
	v_ashrrev_i32_e32 v4, 31, v3
	s_delay_alu instid0(VALU_DEP_1) | instskip(NEXT) | instid1(VALU_DEP_1)
	v_lshlrev_b64_e32 v[3:4], 2, v[3:4]
	v_add_co_u32 v3, vcc_lo, s4, v3
	s_wait_alu 0xfffd
	s_delay_alu instid0(VALU_DEP_2) | instskip(SKIP_2) | instid1(VALU_DEP_1)
	v_add_co_ci_u32_e64 v4, null, s5, v4, vcc_lo
	global_load_b32 v3, v[3:4], off
	v_mul_lo_u32 v4, 0xb8, v2
	v_add3_u32 v4, 0, v4, v5
	s_wait_loadcnt 0x0
	ds_store_b32 v4, v3
.LBB19_27:
	s_or_b32 exec_lo, exec_lo, s9
	v_cmp_gt_u32_e32 vcc_lo, 0x300, v0
	s_and_b32 exec_lo, exec_lo, vcc_lo
	s_cbranch_execz .LBB19_45
; %bb.28:
	v_or_b32_e32 v1, 0xffffff80, v1
	s_mov_b32 s9, exec_lo
	s_delay_alu instid0(VALU_DEP_1) | instskip(NEXT) | instid1(VALU_DEP_1)
	v_lshrrev_b16 v3, 1, v1
	v_and_b32_e32 v3, 0x7f, v3
	s_delay_alu instid0(VALU_DEP_1) | instskip(NEXT) | instid1(VALU_DEP_1)
	v_mul_lo_u16 v3, 0xb3, v3
	v_lshrrev_b16 v3, 12, v3
	s_delay_alu instid0(VALU_DEP_1) | instskip(SKIP_1) | instid1(VALU_DEP_2)
	v_mul_lo_u16 v4, v3, 46
	v_and_b32_e32 v3, 0xffff, v3
	v_sub_nc_u16 v1, v1, v4
	s_delay_alu instid0(VALU_DEP_2) | instskip(NEXT) | instid1(VALU_DEP_2)
	v_add_nc_u32_e32 v2, v2, v3
	v_and_b32_e32 v1, 0xff, v1
	s_delay_alu instid0(VALU_DEP_2)
	v_cmpx_gt_u32_e32 0x80, v2
	s_cbranch_execz .LBB19_30
; %bb.29:
	s_delay_alu instid0(VALU_DEP_2) | instskip(SKIP_1) | instid1(VALU_DEP_2)
	v_mad_co_u64_u32 v[3:4], null, v2, s6, v[1:2]
	v_lshlrev_b32_e32 v5, 2, v1
	v_ashrrev_i32_e32 v4, 31, v3
	s_delay_alu instid0(VALU_DEP_1) | instskip(NEXT) | instid1(VALU_DEP_1)
	v_lshlrev_b64_e32 v[3:4], 2, v[3:4]
	v_add_co_u32 v3, vcc_lo, s4, v3
	s_wait_alu 0xfffd
	s_delay_alu instid0(VALU_DEP_2) | instskip(SKIP_2) | instid1(VALU_DEP_1)
	v_add_co_ci_u32_e64 v4, null, s5, v4, vcc_lo
	global_load_b32 v3, v[3:4], off
	v_mul_lo_u32 v4, 0xb8, v2
	v_add3_u32 v4, 0, v4, v5
	s_wait_loadcnt 0x0
	ds_store_b32 v4, v3
.LBB19_30:
	s_or_b32 exec_lo, exec_lo, s9
	v_cmp_gt_u32_e32 vcc_lo, 0x280, v0
	s_and_b32 exec_lo, exec_lo, vcc_lo
	;; [unrolled: 40-line block ×6, first 2 shown]
	s_cbranch_execz .LBB19_45
; %bb.43:
	v_or_b32_e32 v3, 0x80, v1
	s_delay_alu instid0(VALU_DEP_1) | instskip(NEXT) | instid1(VALU_DEP_1)
	v_lshrrev_b16 v1, 1, v3
	v_mul_lo_u16 v1, 0xb3, v1
	s_delay_alu instid0(VALU_DEP_1) | instskip(NEXT) | instid1(VALU_DEP_1)
	v_lshrrev_b16 v4, 12, v1
	v_and_b32_e32 v1, 0xffff, v4
	s_delay_alu instid0(VALU_DEP_1) | instskip(NEXT) | instid1(VALU_DEP_1)
	v_add_nc_u32_e32 v1, v2, v1
	v_cmp_gt_u32_e32 vcc_lo, 0x80, v1
	s_and_b32 exec_lo, exec_lo, vcc_lo
	s_cbranch_execz .LBB19_45
; %bb.44:
	v_mul_lo_u16 v2, v4, 46
	s_delay_alu instid0(VALU_DEP_1) | instskip(NEXT) | instid1(VALU_DEP_1)
	v_sub_nc_u16 v2, v3, v2
	v_and_b32_e32 v2, 0xff, v2
	s_delay_alu instid0(VALU_DEP_1) | instskip(SKIP_2) | instid1(VALU_DEP_3)
	v_mad_co_u64_u32 v[3:4], null, v1, s6, v[2:3]
	v_mul_lo_u32 v1, 0xb8, v1
	v_lshlrev_b32_e32 v2, 2, v2
	v_ashrrev_i32_e32 v4, 31, v3
	s_delay_alu instid0(VALU_DEP_2) | instskip(NEXT) | instid1(VALU_DEP_2)
	v_add3_u32 v1, 0, v1, v2
	v_lshlrev_b64_e32 v[3:4], 2, v[3:4]
	s_delay_alu instid0(VALU_DEP_1) | instskip(SKIP_1) | instid1(VALU_DEP_2)
	v_add_co_u32 v3, vcc_lo, s4, v3
	s_wait_alu 0xfffd
	v_add_co_ci_u32_e64 v4, null, s5, v4, vcc_lo
	global_load_b32 v3, v[3:4], off
	s_wait_loadcnt 0x0
	ds_store_b32 v1, v3
.LBB19_45:
	s_or_b32 exec_lo, exec_lo, s8
	s_clause 0x1
	s_load_b128 s[8:11], s[0:1], 0x8
	s_load_b64 s[4:5], s[0:1], 0x28
	s_ashr_i32 s6, s7, 2
	s_ashr_i32 s15, s7, 31
	s_wait_alu 0xfffe
	v_mul_lo_u32 v1, s6, v0
	s_mov_b32 s14, s7
	s_wait_dscnt 0x0
	s_mul_u64 s[6:7], s[2:3], s[14:15]
	s_barrier_signal -1
	s_barrier_wait -1
	global_inv scope:SCOPE_SE
	v_lshlrev_b32_e32 v17, 2, v0
	v_ashrrev_i32_e32 v2, 31, v1
	s_delay_alu instid0(VALU_DEP_1)
	v_lshlrev_b64_e32 v[1:2], 2, v[1:2]
	s_wait_kmcnt 0x0
	s_wait_alu 0xfffe
	s_add_nc_u64 s[6:7], s[8:9], s[6:7]
	s_cmp_eq_u64 s[10:11], 0
	s_wait_alu 0xfffe
	v_add_co_u32 v9, vcc_lo, s6, v1
	s_wait_alu 0xfffd
	v_add_co_ci_u32_e64 v10, null, s7, v2, vcc_lo
	s_clause 0x3
	global_load_b96 v[13:15], v[9:10], off offset:48
	global_load_b128 v[1:4], v[9:10], off offset:32
	global_load_b128 v[5:8], v[9:10], off offset:16
	global_load_b128 v[9:12], v[9:10], off
	s_cbranch_scc1 .LBB19_47
; %bb.46:
	s_lshl_b32 s6, s2, 2
	s_mov_b32 s7, 0
	s_wait_alu 0xfffe
	s_add_nc_u64 s[6:7], s[10:11], s[6:7]
	global_load_b32 v20, v17, s[6:7]
	s_branch .LBB19_48
.LBB19_47:
	v_mov_b32_e32 v20, 0
.LBB19_48:
	s_load_b64 s[6:7], s[0:1], 0x40
	s_wait_kmcnt 0x0
	s_sub_nc_u64 s[6:7], s[6:7], s[12:13]
	s_wait_alu 0xfffe
	v_cmp_lt_i64_e64 s8, s[6:7], 1
	s_and_b32 vcc_lo, exec_lo, s8
	s_wait_alu 0xfffe
	s_cbranch_vccnz .LBB19_51
; %bb.49:
	s_load_b96 s[8:10], s[0:1], 0x30
	v_mad_u32_u24 v0, 0xb8, v0, 0
	v_cmp_lt_u64_e64 s16, s[6:7], 32
	ds_load_b32 v16, v0
	s_wait_kmcnt 0x0
	s_mul_i32 s0, s10, ttmp9
	s_ashr_i32 s11, s9, 31
	s_mov_b32 s10, s9
	s_ashr_i32 s15, s8, 31
	s_mov_b32 s14, s8
	s_mul_u64 s[10:11], s[12:13], s[10:11]
	s_mul_u64 s[2:3], s[2:3], s[14:15]
	s_ashr_i32 s1, s0, 31
	s_add_nc_u64 s[2:3], s[2:3], s[10:11]
	s_add_nc_u64 s[0:1], s[4:5], s[0:1]
	s_ashr_i32 s8, s9, 2
	s_add_nc_u64 s[0:1], s[0:1], s[2:3]
	s_ashr_i32 s9, s8, 31
	v_add_co_u32 v18, s0, s0, v17
	s_wait_alu 0xf1ff
	v_add_co_ci_u32_e64 v19, null, s1, 0, s0
	s_and_b32 s4, s16, exec_lo
	s_cselect_b32 s1, s7, 0
	s_cselect_b32 s0, s6, 32
	s_lshl_b64 s[2:3], s[8:9], 2
.LBB19_50:                              ; =>This Inner Loop Header: Depth=1
	s_wait_loadcnt_dscnt 0x0
	v_fma_f32 v33, v9, v16, 0
	ds_load_2addr_b32 v[16:17], v0 offset0:1 offset1:2
	ds_load_2addr_b32 v[21:22], v0 offset0:3 offset1:4
	ds_load_2addr_b32 v[23:24], v0 offset0:5 offset1:6
	ds_load_2addr_b32 v[25:26], v0 offset0:7 offset1:8
	ds_load_2addr_b32 v[27:28], v0 offset0:9 offset1:10
	ds_load_2addr_b32 v[29:30], v0 offset0:11 offset1:12
	ds_load_2addr_b32 v[31:32], v0 offset0:13 offset1:14
	s_wait_alu 0xfffe
	s_add_nc_u64 s[0:1], s[0:1], -1
	s_wait_alu 0xfffe
	s_cmp_lg_u64 s[0:1], 0
	s_wait_dscnt 0x6
	v_fmac_f32_e32 v33, v10, v16
	s_delay_alu instid0(VALU_DEP_1) | instskip(SKIP_1) | instid1(VALU_DEP_1)
	v_dual_fmac_f32 v33, v11, v17 :: v_dual_add_nc_u32 v34, 4, v0
	s_wait_dscnt 0x5
	v_dual_mov_b32 v0, v34 :: v_dual_fmac_f32 v33, v12, v21
	s_delay_alu instid0(VALU_DEP_1) | instskip(SKIP_1) | instid1(VALU_DEP_1)
	v_fmac_f32_e32 v33, v5, v22
	s_wait_dscnt 0x4
	v_fmac_f32_e32 v33, v6, v23
	s_delay_alu instid0(VALU_DEP_1) | instskip(SKIP_1) | instid1(VALU_DEP_1)
	v_fmac_f32_e32 v33, v7, v24
	s_wait_dscnt 0x3
	v_fmac_f32_e32 v33, v8, v25
	s_delay_alu instid0(VALU_DEP_1) | instskip(SKIP_1) | instid1(VALU_DEP_1)
	v_fmac_f32_e32 v33, v1, v26
	s_wait_dscnt 0x2
	v_fmac_f32_e32 v33, v2, v27
	s_delay_alu instid0(VALU_DEP_1) | instskip(SKIP_1) | instid1(VALU_DEP_1)
	v_fmac_f32_e32 v33, v3, v28
	s_wait_dscnt 0x1
	v_fmac_f32_e32 v33, v4, v29
	s_delay_alu instid0(VALU_DEP_1) | instskip(SKIP_1) | instid1(VALU_DEP_1)
	v_fmac_f32_e32 v33, v13, v30
	s_wait_dscnt 0x0
	v_fmac_f32_e32 v33, v14, v31
	s_delay_alu instid0(VALU_DEP_1) | instskip(NEXT) | instid1(VALU_DEP_1)
	v_fmac_f32_e32 v33, v15, v32
	v_add_f32_e32 v17, v20, v33
	global_store_b32 v[18:19], v17, off
	v_add_co_u32 v18, vcc_lo, v18, s2
	s_wait_alu 0xfffd
	v_add_co_ci_u32_e64 v19, null, s3, v19, vcc_lo
	s_cbranch_scc1 .LBB19_50
.LBB19_51:
	s_endpgm
	.section	.rodata,"a",@progbits
	.p2align	6, 0x0
	.amdhsa_kernel _ZL23ssm_conv_long_token_f32ILb0ELm128ELm15ELl32EEvPKfS1_S1_iiiiPfiiil
		.amdhsa_group_segment_fixed_size 0
		.amdhsa_private_segment_fixed_size 0
		.amdhsa_kernarg_size 72
		.amdhsa_user_sgpr_count 2
		.amdhsa_user_sgpr_dispatch_ptr 0
		.amdhsa_user_sgpr_queue_ptr 0
		.amdhsa_user_sgpr_kernarg_segment_ptr 1
		.amdhsa_user_sgpr_dispatch_id 0
		.amdhsa_user_sgpr_private_segment_size 0
		.amdhsa_wavefront_size32 1
		.amdhsa_uses_dynamic_stack 0
		.amdhsa_enable_private_segment 0
		.amdhsa_system_sgpr_workgroup_id_x 1
		.amdhsa_system_sgpr_workgroup_id_y 1
		.amdhsa_system_sgpr_workgroup_id_z 1
		.amdhsa_system_sgpr_workgroup_info 0
		.amdhsa_system_vgpr_workitem_id 0
		.amdhsa_next_free_vgpr 90
		.amdhsa_next_free_sgpr 18
		.amdhsa_reserve_vcc 1
		.amdhsa_float_round_mode_32 0
		.amdhsa_float_round_mode_16_64 0
		.amdhsa_float_denorm_mode_32 3
		.amdhsa_float_denorm_mode_16_64 3
		.amdhsa_fp16_overflow 0
		.amdhsa_workgroup_processor_mode 1
		.amdhsa_memory_ordered 1
		.amdhsa_forward_progress 1
		.amdhsa_inst_pref_size 77
		.amdhsa_round_robin_scheduling 0
		.amdhsa_exception_fp_ieee_invalid_op 0
		.amdhsa_exception_fp_denorm_src 0
		.amdhsa_exception_fp_ieee_div_zero 0
		.amdhsa_exception_fp_ieee_overflow 0
		.amdhsa_exception_fp_ieee_underflow 0
		.amdhsa_exception_fp_ieee_inexact 0
		.amdhsa_exception_int_div_zero 0
	.end_amdhsa_kernel
	.section	.text._ZL23ssm_conv_long_token_f32ILb0ELm128ELm15ELl32EEvPKfS1_S1_iiiiPfiiil,"axG",@progbits,_ZL23ssm_conv_long_token_f32ILb0ELm128ELm15ELl32EEvPKfS1_S1_iiiiPfiiil,comdat
.Lfunc_end19:
	.size	_ZL23ssm_conv_long_token_f32ILb0ELm128ELm15ELl32EEvPKfS1_S1_iiiiPfiiil, .Lfunc_end19-_ZL23ssm_conv_long_token_f32ILb0ELm128ELm15ELl32EEvPKfS1_S1_iiiiPfiiil
                                        ; -- End function
	.set _ZL23ssm_conv_long_token_f32ILb0ELm128ELm15ELl32EEvPKfS1_S1_iiiiPfiiil.num_vgpr, 90
	.set _ZL23ssm_conv_long_token_f32ILb0ELm128ELm15ELl32EEvPKfS1_S1_iiiiPfiiil.num_agpr, 0
	.set _ZL23ssm_conv_long_token_f32ILb0ELm128ELm15ELl32EEvPKfS1_S1_iiiiPfiiil.numbered_sgpr, 18
	.set _ZL23ssm_conv_long_token_f32ILb0ELm128ELm15ELl32EEvPKfS1_S1_iiiiPfiiil.num_named_barrier, 0
	.set _ZL23ssm_conv_long_token_f32ILb0ELm128ELm15ELl32EEvPKfS1_S1_iiiiPfiiil.private_seg_size, 0
	.set _ZL23ssm_conv_long_token_f32ILb0ELm128ELm15ELl32EEvPKfS1_S1_iiiiPfiiil.uses_vcc, 1
	.set _ZL23ssm_conv_long_token_f32ILb0ELm128ELm15ELl32EEvPKfS1_S1_iiiiPfiiil.uses_flat_scratch, 0
	.set _ZL23ssm_conv_long_token_f32ILb0ELm128ELm15ELl32EEvPKfS1_S1_iiiiPfiiil.has_dyn_sized_stack, 0
	.set _ZL23ssm_conv_long_token_f32ILb0ELm128ELm15ELl32EEvPKfS1_S1_iiiiPfiiil.has_recursion, 0
	.set _ZL23ssm_conv_long_token_f32ILb0ELm128ELm15ELl32EEvPKfS1_S1_iiiiPfiiil.has_indirect_call, 0
	.section	.AMDGPU.csdata,"",@progbits
; Kernel info:
; codeLenInByte = 9732
; TotalNumSgprs: 20
; NumVgprs: 90
; ScratchSize: 0
; MemoryBound: 0
; FloatMode: 240
; IeeeMode: 1
; LDSByteSize: 0 bytes/workgroup (compile time only)
; SGPRBlocks: 0
; VGPRBlocks: 11
; NumSGPRsForWavesPerEU: 20
; NumVGPRsForWavesPerEU: 90
; Occupancy: 16
; WaveLimiterHint : 0
; COMPUTE_PGM_RSRC2:SCRATCH_EN: 0
; COMPUTE_PGM_RSRC2:USER_SGPR: 2
; COMPUTE_PGM_RSRC2:TRAP_HANDLER: 0
; COMPUTE_PGM_RSRC2:TGID_X_EN: 1
; COMPUTE_PGM_RSRC2:TGID_Y_EN: 1
; COMPUTE_PGM_RSRC2:TGID_Z_EN: 1
; COMPUTE_PGM_RSRC2:TIDIG_COMP_CNT: 0
	.section	.AMDGPU.gpr_maximums,"",@progbits
	.set amdgpu.max_num_vgpr, 0
	.set amdgpu.max_num_agpr, 0
	.set amdgpu.max_num_sgpr, 0
	.section	.AMDGPU.csdata,"",@progbits
	.type	__hip_cuid_87c8c32b5d8cafe3,@object ; @__hip_cuid_87c8c32b5d8cafe3
	.section	.bss,"aw",@nobits
	.globl	__hip_cuid_87c8c32b5d8cafe3
__hip_cuid_87c8c32b5d8cafe3:
	.byte	0                               ; 0x0
	.size	__hip_cuid_87c8c32b5d8cafe3, 1

	.ident	"AMD clang version 22.0.0git (https://github.com/RadeonOpenCompute/llvm-project roc-7.2.4 26084 f58b06dce1f9c15707c5f808fd002e18c2accf7e)"
	.section	".note.GNU-stack","",@progbits
	.addrsig
	.addrsig_sym __hip_cuid_87c8c32b5d8cafe3
	.amdgpu_metadata
---
amdhsa.kernels:
  - .args:
      - .address_space:  global
        .offset:         0
        .size:           8
        .value_kind:     global_buffer
      - .address_space:  global
        .offset:         8
        .size:           8
        .value_kind:     global_buffer
      - .address_space:  global
        .offset:         16
        .size:           8
        .value_kind:     global_buffer
      - .offset:         24
        .size:           4
        .value_kind:     by_value
      - .offset:         28
        .size:           4
        .value_kind:     by_value
      - .offset:         32
        .size:           4
        .value_kind:     by_value
      - .offset:         36
        .size:           4
        .value_kind:     by_value
      - .address_space:  global
        .offset:         40
        .size:           8
        .value_kind:     global_buffer
      - .offset:         48
        .size:           4
        .value_kind:     by_value
      - .offset:         52
        .size:           4
        .value_kind:     by_value
      - .offset:         56
        .size:           4
        .value_kind:     by_value
      - .offset:         64
        .size:           8
        .value_kind:     by_value
    .group_segment_fixed_size: 0
    .kernarg_segment_align: 8
    .kernarg_segment_size: 72
    .language:       OpenCL C
    .language_version:
      - 2
      - 0
    .max_flat_workgroup_size: 1024
    .name:           _ZL12ssm_conv_f32ILb1ELm128ELm3EEvPKfS1_S1_iiiiPfiiil
    .private_segment_fixed_size: 0
    .sgpr_count:     74
    .sgpr_spill_count: 0
    .symbol:         _ZL12ssm_conv_f32ILb1ELm128ELm3EEvPKfS1_S1_iiiiPfiiil.kd
    .uniform_work_group_size: 1
    .uses_dynamic_stack: false
    .vgpr_count:     18
    .vgpr_spill_count: 0
    .wavefront_size: 32
    .workgroup_processor_mode: 1
  - .args:
      - .actual_access:  read_only
        .address_space:  global
        .offset:         0
        .size:           8
        .value_kind:     global_buffer
      - .actual_access:  read_only
        .address_space:  global
        .offset:         8
        .size:           8
        .value_kind:     global_buffer
      - .actual_access:  read_only
        .address_space:  global
        .offset:         16
        .size:           8
        .value_kind:     global_buffer
      - .offset:         24
        .size:           4
        .value_kind:     by_value
      - .offset:         28
        .size:           4
        .value_kind:     by_value
      - .offset:         32
        .size:           4
        .value_kind:     by_value
      - .offset:         36
        .size:           4
        .value_kind:     by_value
      - .actual_access:  write_only
        .address_space:  global
        .offset:         40
        .size:           8
        .value_kind:     global_buffer
      - .offset:         48
        .size:           4
        .value_kind:     by_value
      - .offset:         52
        .size:           4
        .value_kind:     by_value
      - .offset:         56
        .size:           4
        .value_kind:     by_value
      - .offset:         64
        .size:           8
        .value_kind:     by_value
    .group_segment_fixed_size: 0
    .kernarg_segment_align: 8
    .kernarg_segment_size: 72
    .language:       OpenCL C
    .language_version:
      - 2
      - 0
    .max_flat_workgroup_size: 1024
    .name:           _ZL23ssm_conv_long_token_f32ILb1ELm128ELm3ELl32EEvPKfS1_S1_iiiiPfiiil
    .private_segment_fixed_size: 0
    .sgpr_count:     20
    .sgpr_spill_count: 0
    .symbol:         _ZL23ssm_conv_long_token_f32ILb1ELm128ELm3ELl32EEvPKfS1_S1_iiiiPfiiil.kd
    .uniform_work_group_size: 1
    .uses_dynamic_stack: false
    .vgpr_count:     71
    .vgpr_spill_count: 0
    .wavefront_size: 32
    .workgroup_processor_mode: 1
  - .args:
      - .address_space:  global
        .offset:         0
        .size:           8
        .value_kind:     global_buffer
      - .address_space:  global
        .offset:         8
        .size:           8
        .value_kind:     global_buffer
      - .address_space:  global
        .offset:         16
        .size:           8
        .value_kind:     global_buffer
      - .offset:         24
        .size:           4
        .value_kind:     by_value
      - .offset:         28
        .size:           4
        .value_kind:     by_value
      - .offset:         32
        .size:           4
        .value_kind:     by_value
      - .offset:         36
        .size:           4
        .value_kind:     by_value
      - .address_space:  global
        .offset:         40
        .size:           8
        .value_kind:     global_buffer
      - .offset:         48
        .size:           4
        .value_kind:     by_value
      - .offset:         52
        .size:           4
        .value_kind:     by_value
      - .offset:         56
        .size:           4
        .value_kind:     by_value
      - .offset:         64
        .size:           8
        .value_kind:     by_value
    .group_segment_fixed_size: 0
    .kernarg_segment_align: 8
    .kernarg_segment_size: 72
    .language:       OpenCL C
    .language_version:
      - 2
      - 0
    .max_flat_workgroup_size: 1024
    .name:           _ZL12ssm_conv_f32ILb1ELm128ELm4EEvPKfS1_S1_iiiiPfiiil
    .private_segment_fixed_size: 0
    .sgpr_count:     18
    .sgpr_spill_count: 0
    .symbol:         _ZL12ssm_conv_f32ILb1ELm128ELm4EEvPKfS1_S1_iiiiPfiiil.kd
    .uniform_work_group_size: 1
    .uses_dynamic_stack: false
    .vgpr_count:     20
    .vgpr_spill_count: 0
    .wavefront_size: 32
    .workgroup_processor_mode: 1
  - .args:
      - .actual_access:  read_only
        .address_space:  global
        .offset:         0
        .size:           8
        .value_kind:     global_buffer
      - .actual_access:  read_only
        .address_space:  global
        .offset:         8
        .size:           8
        .value_kind:     global_buffer
      - .actual_access:  read_only
        .address_space:  global
        .offset:         16
        .size:           8
        .value_kind:     global_buffer
      - .offset:         24
        .size:           4
        .value_kind:     by_value
      - .offset:         28
        .size:           4
        .value_kind:     by_value
      - .offset:         32
        .size:           4
        .value_kind:     by_value
      - .offset:         36
        .size:           4
        .value_kind:     by_value
      - .actual_access:  write_only
        .address_space:  global
        .offset:         40
        .size:           8
        .value_kind:     global_buffer
      - .offset:         48
        .size:           4
        .value_kind:     by_value
      - .offset:         52
        .size:           4
        .value_kind:     by_value
      - .offset:         56
        .size:           4
        .value_kind:     by_value
      - .offset:         64
        .size:           8
        .value_kind:     by_value
    .group_segment_fixed_size: 0
    .kernarg_segment_align: 8
    .kernarg_segment_size: 72
    .language:       OpenCL C
    .language_version:
      - 2
      - 0
    .max_flat_workgroup_size: 1024
    .name:           _ZL23ssm_conv_long_token_f32ILb1ELm128ELm4ELl32EEvPKfS1_S1_iiiiPfiiil
    .private_segment_fixed_size: 0
    .sgpr_count:     20
    .sgpr_spill_count: 0
    .symbol:         _ZL23ssm_conv_long_token_f32ILb1ELm128ELm4ELl32EEvPKfS1_S1_iiiiPfiiil.kd
    .uniform_work_group_size: 1
    .uses_dynamic_stack: false
    .vgpr_count:     71
    .vgpr_spill_count: 0
    .wavefront_size: 32
    .workgroup_processor_mode: 1
  - .args:
      - .address_space:  global
        .offset:         0
        .size:           8
        .value_kind:     global_buffer
      - .address_space:  global
        .offset:         8
        .size:           8
        .value_kind:     global_buffer
      - .address_space:  global
        .offset:         16
        .size:           8
        .value_kind:     global_buffer
      - .offset:         24
        .size:           4
        .value_kind:     by_value
      - .offset:         28
        .size:           4
        .value_kind:     by_value
      - .offset:         32
        .size:           4
        .value_kind:     by_value
      - .offset:         36
        .size:           4
        .value_kind:     by_value
      - .address_space:  global
        .offset:         40
        .size:           8
        .value_kind:     global_buffer
      - .offset:         48
        .size:           4
        .value_kind:     by_value
      - .offset:         52
        .size:           4
        .value_kind:     by_value
      - .offset:         56
        .size:           4
        .value_kind:     by_value
      - .offset:         64
        .size:           8
        .value_kind:     by_value
    .group_segment_fixed_size: 0
    .kernarg_segment_align: 8
    .kernarg_segment_size: 72
    .language:       OpenCL C
    .language_version:
      - 2
      - 0
    .max_flat_workgroup_size: 1024
    .name:           _ZL12ssm_conv_f32ILb1ELm128ELm5EEvPKfS1_S1_iiiiPfiiil
    .private_segment_fixed_size: 0
    .sgpr_count:     98
    .sgpr_spill_count: 0
    .symbol:         _ZL12ssm_conv_f32ILb1ELm128ELm5EEvPKfS1_S1_iiiiPfiiil.kd
    .uniform_work_group_size: 1
    .uses_dynamic_stack: false
    .vgpr_count:     22
    .vgpr_spill_count: 0
    .wavefront_size: 32
    .workgroup_processor_mode: 1
  - .args:
      - .actual_access:  read_only
        .address_space:  global
        .offset:         0
        .size:           8
        .value_kind:     global_buffer
      - .actual_access:  read_only
        .address_space:  global
        .offset:         8
        .size:           8
        .value_kind:     global_buffer
      - .actual_access:  read_only
        .address_space:  global
        .offset:         16
        .size:           8
        .value_kind:     global_buffer
      - .offset:         24
        .size:           4
        .value_kind:     by_value
      - .offset:         28
        .size:           4
        .value_kind:     by_value
      - .offset:         32
        .size:           4
        .value_kind:     by_value
      - .offset:         36
        .size:           4
        .value_kind:     by_value
      - .actual_access:  write_only
        .address_space:  global
        .offset:         40
        .size:           8
        .value_kind:     global_buffer
      - .offset:         48
        .size:           4
        .value_kind:     by_value
      - .offset:         52
        .size:           4
        .value_kind:     by_value
      - .offset:         56
        .size:           4
        .value_kind:     by_value
      - .offset:         64
        .size:           8
        .value_kind:     by_value
    .group_segment_fixed_size: 0
    .kernarg_segment_align: 8
    .kernarg_segment_size: 72
    .language:       OpenCL C
    .language_version:
      - 2
      - 0
    .max_flat_workgroup_size: 1024
    .name:           _ZL23ssm_conv_long_token_f32ILb1ELm128ELm5ELl32EEvPKfS1_S1_iiiiPfiiil
    .private_segment_fixed_size: 0
    .sgpr_count:     20
    .sgpr_spill_count: 0
    .symbol:         _ZL23ssm_conv_long_token_f32ILb1ELm128ELm5ELl32EEvPKfS1_S1_iiiiPfiiil.kd
    .uniform_work_group_size: 1
    .uses_dynamic_stack: false
    .vgpr_count:     71
    .vgpr_spill_count: 0
    .wavefront_size: 32
    .workgroup_processor_mode: 1
  - .args:
      - .address_space:  global
        .offset:         0
        .size:           8
        .value_kind:     global_buffer
      - .address_space:  global
        .offset:         8
        .size:           8
        .value_kind:     global_buffer
      - .address_space:  global
        .offset:         16
        .size:           8
        .value_kind:     global_buffer
      - .offset:         24
        .size:           4
        .value_kind:     by_value
      - .offset:         28
        .size:           4
        .value_kind:     by_value
      - .offset:         32
        .size:           4
        .value_kind:     by_value
      - .offset:         36
        .size:           4
        .value_kind:     by_value
      - .address_space:  global
        .offset:         40
        .size:           8
        .value_kind:     global_buffer
      - .offset:         48
        .size:           4
        .value_kind:     by_value
      - .offset:         52
        .size:           4
        .value_kind:     by_value
      - .offset:         56
        .size:           4
        .value_kind:     by_value
      - .offset:         64
        .size:           8
        .value_kind:     by_value
    .group_segment_fixed_size: 0
    .kernarg_segment_align: 8
    .kernarg_segment_size: 72
    .language:       OpenCL C
    .language_version:
      - 2
      - 0
    .max_flat_workgroup_size: 1024
    .name:           _ZL12ssm_conv_f32ILb1ELm128ELm9EEvPKfS1_S1_iiiiPfiiil
    .private_segment_fixed_size: 0
    .sgpr_count:     104
    .sgpr_spill_count: 0
    .symbol:         _ZL12ssm_conv_f32ILb1ELm128ELm9EEvPKfS1_S1_iiiiPfiiil.kd
    .uniform_work_group_size: 1
    .uses_dynamic_stack: false
    .vgpr_count:     30
    .vgpr_spill_count: 0
    .wavefront_size: 32
    .workgroup_processor_mode: 1
  - .args:
      - .actual_access:  read_only
        .address_space:  global
        .offset:         0
        .size:           8
        .value_kind:     global_buffer
      - .actual_access:  read_only
        .address_space:  global
        .offset:         8
        .size:           8
        .value_kind:     global_buffer
      - .actual_access:  read_only
        .address_space:  global
        .offset:         16
        .size:           8
        .value_kind:     global_buffer
      - .offset:         24
        .size:           4
        .value_kind:     by_value
      - .offset:         28
        .size:           4
        .value_kind:     by_value
      - .offset:         32
        .size:           4
        .value_kind:     by_value
      - .offset:         36
        .size:           4
        .value_kind:     by_value
      - .actual_access:  write_only
        .address_space:  global
        .offset:         40
        .size:           8
        .value_kind:     global_buffer
      - .offset:         48
        .size:           4
        .value_kind:     by_value
      - .offset:         52
        .size:           4
        .value_kind:     by_value
      - .offset:         56
        .size:           4
        .value_kind:     by_value
      - .offset:         64
        .size:           8
        .value_kind:     by_value
    .group_segment_fixed_size: 0
    .kernarg_segment_align: 8
    .kernarg_segment_size: 72
    .language:       OpenCL C
    .language_version:
      - 2
      - 0
    .max_flat_workgroup_size: 1024
    .name:           _ZL23ssm_conv_long_token_f32ILb1ELm128ELm9ELl32EEvPKfS1_S1_iiiiPfiiil
    .private_segment_fixed_size: 0
    .sgpr_count:     20
    .sgpr_spill_count: 0
    .symbol:         _ZL23ssm_conv_long_token_f32ILb1ELm128ELm9ELl32EEvPKfS1_S1_iiiiPfiiil.kd
    .uniform_work_group_size: 1
    .uses_dynamic_stack: false
    .vgpr_count:     88
    .vgpr_spill_count: 0
    .wavefront_size: 32
    .workgroup_processor_mode: 1
  - .args:
      - .address_space:  global
        .offset:         0
        .size:           8
        .value_kind:     global_buffer
      - .address_space:  global
        .offset:         8
        .size:           8
        .value_kind:     global_buffer
      - .address_space:  global
        .offset:         16
        .size:           8
        .value_kind:     global_buffer
      - .offset:         24
        .size:           4
        .value_kind:     by_value
      - .offset:         28
        .size:           4
        .value_kind:     by_value
      - .offset:         32
        .size:           4
        .value_kind:     by_value
      - .offset:         36
        .size:           4
        .value_kind:     by_value
      - .address_space:  global
        .offset:         40
        .size:           8
        .value_kind:     global_buffer
      - .offset:         48
        .size:           4
        .value_kind:     by_value
      - .offset:         52
        .size:           4
        .value_kind:     by_value
      - .offset:         56
        .size:           4
        .value_kind:     by_value
      - .offset:         64
        .size:           8
        .value_kind:     by_value
    .group_segment_fixed_size: 0
    .kernarg_segment_align: 8
    .kernarg_segment_size: 72
    .language:       OpenCL C
    .language_version:
      - 2
      - 0
    .max_flat_workgroup_size: 1024
    .name:           _ZL12ssm_conv_f32ILb1ELm128ELm15EEvPKfS1_S1_iiiiPfiiil
    .private_segment_fixed_size: 0
    .sgpr_count:     107
    .sgpr_spill_count: 0
    .symbol:         _ZL12ssm_conv_f32ILb1ELm128ELm15EEvPKfS1_S1_iiiiPfiiil.kd
    .uniform_work_group_size: 1
    .uses_dynamic_stack: false
    .vgpr_count:     46
    .vgpr_spill_count: 0
    .wavefront_size: 32
    .workgroup_processor_mode: 1
  - .args:
      - .actual_access:  read_only
        .address_space:  global
        .offset:         0
        .size:           8
        .value_kind:     global_buffer
      - .actual_access:  read_only
        .address_space:  global
        .offset:         8
        .size:           8
        .value_kind:     global_buffer
      - .actual_access:  read_only
        .address_space:  global
        .offset:         16
        .size:           8
        .value_kind:     global_buffer
      - .offset:         24
        .size:           4
        .value_kind:     by_value
      - .offset:         28
        .size:           4
        .value_kind:     by_value
      - .offset:         32
        .size:           4
        .value_kind:     by_value
      - .offset:         36
        .size:           4
        .value_kind:     by_value
      - .actual_access:  write_only
        .address_space:  global
        .offset:         40
        .size:           8
        .value_kind:     global_buffer
      - .offset:         48
        .size:           4
        .value_kind:     by_value
      - .offset:         52
        .size:           4
        .value_kind:     by_value
      - .offset:         56
        .size:           4
        .value_kind:     by_value
      - .offset:         64
        .size:           8
        .value_kind:     by_value
    .group_segment_fixed_size: 0
    .kernarg_segment_align: 8
    .kernarg_segment_size: 72
    .language:       OpenCL C
    .language_version:
      - 2
      - 0
    .max_flat_workgroup_size: 1024
    .name:           _ZL23ssm_conv_long_token_f32ILb1ELm128ELm15ELl32EEvPKfS1_S1_iiiiPfiiil
    .private_segment_fixed_size: 0
    .sgpr_count:     20
    .sgpr_spill_count: 0
    .symbol:         _ZL23ssm_conv_long_token_f32ILb1ELm128ELm15ELl32EEvPKfS1_S1_iiiiPfiiil.kd
    .uniform_work_group_size: 1
    .uses_dynamic_stack: false
    .vgpr_count:     90
    .vgpr_spill_count: 0
    .wavefront_size: 32
    .workgroup_processor_mode: 1
  - .args:
      - .address_space:  global
        .offset:         0
        .size:           8
        .value_kind:     global_buffer
      - .address_space:  global
        .offset:         8
        .size:           8
        .value_kind:     global_buffer
      - .address_space:  global
        .offset:         16
        .size:           8
        .value_kind:     global_buffer
      - .offset:         24
        .size:           4
        .value_kind:     by_value
      - .offset:         28
        .size:           4
        .value_kind:     by_value
      - .offset:         32
        .size:           4
        .value_kind:     by_value
      - .offset:         36
        .size:           4
        .value_kind:     by_value
      - .address_space:  global
        .offset:         40
        .size:           8
        .value_kind:     global_buffer
      - .offset:         48
        .size:           4
        .value_kind:     by_value
      - .offset:         52
        .size:           4
        .value_kind:     by_value
      - .offset:         56
        .size:           4
        .value_kind:     by_value
      - .offset:         64
        .size:           8
        .value_kind:     by_value
    .group_segment_fixed_size: 0
    .kernarg_segment_align: 8
    .kernarg_segment_size: 72
    .language:       OpenCL C
    .language_version:
      - 2
      - 0
    .max_flat_workgroup_size: 1024
    .name:           _ZL12ssm_conv_f32ILb0ELm128ELm3EEvPKfS1_S1_iiiiPfiiil
    .private_segment_fixed_size: 0
    .sgpr_count:     74
    .sgpr_spill_count: 0
    .symbol:         _ZL12ssm_conv_f32ILb0ELm128ELm3EEvPKfS1_S1_iiiiPfiiil.kd
    .uniform_work_group_size: 1
    .uses_dynamic_stack: false
    .vgpr_count:     14
    .vgpr_spill_count: 0
    .wavefront_size: 32
    .workgroup_processor_mode: 1
  - .args:
      - .actual_access:  read_only
        .address_space:  global
        .offset:         0
        .size:           8
        .value_kind:     global_buffer
      - .actual_access:  read_only
        .address_space:  global
        .offset:         8
        .size:           8
        .value_kind:     global_buffer
      - .actual_access:  read_only
        .address_space:  global
        .offset:         16
        .size:           8
        .value_kind:     global_buffer
      - .offset:         24
        .size:           4
        .value_kind:     by_value
      - .offset:         28
        .size:           4
        .value_kind:     by_value
      - .offset:         32
        .size:           4
        .value_kind:     by_value
      - .offset:         36
        .size:           4
        .value_kind:     by_value
      - .actual_access:  write_only
        .address_space:  global
        .offset:         40
        .size:           8
        .value_kind:     global_buffer
      - .offset:         48
        .size:           4
        .value_kind:     by_value
      - .offset:         52
        .size:           4
        .value_kind:     by_value
      - .offset:         56
        .size:           4
        .value_kind:     by_value
      - .offset:         64
        .size:           8
        .value_kind:     by_value
    .group_segment_fixed_size: 0
    .kernarg_segment_align: 8
    .kernarg_segment_size: 72
    .language:       OpenCL C
    .language_version:
      - 2
      - 0
    .max_flat_workgroup_size: 1024
    .name:           _ZL23ssm_conv_long_token_f32ILb0ELm128ELm3ELl32EEvPKfS1_S1_iiiiPfiiil
    .private_segment_fixed_size: 0
    .sgpr_count:     20
    .sgpr_spill_count: 0
    .symbol:         _ZL23ssm_conv_long_token_f32ILb0ELm128ELm3ELl32EEvPKfS1_S1_iiiiPfiiil.kd
    .uniform_work_group_size: 1
    .uses_dynamic_stack: false
    .vgpr_count:     71
    .vgpr_spill_count: 0
    .wavefront_size: 32
    .workgroup_processor_mode: 1
  - .args:
      - .address_space:  global
        .offset:         0
        .size:           8
        .value_kind:     global_buffer
      - .address_space:  global
        .offset:         8
        .size:           8
        .value_kind:     global_buffer
      - .address_space:  global
        .offset:         16
        .size:           8
        .value_kind:     global_buffer
      - .offset:         24
        .size:           4
        .value_kind:     by_value
      - .offset:         28
        .size:           4
        .value_kind:     by_value
      - .offset:         32
        .size:           4
        .value_kind:     by_value
      - .offset:         36
        .size:           4
        .value_kind:     by_value
      - .address_space:  global
        .offset:         40
        .size:           8
        .value_kind:     global_buffer
      - .offset:         48
        .size:           4
        .value_kind:     by_value
      - .offset:         52
        .size:           4
        .value_kind:     by_value
      - .offset:         56
        .size:           4
        .value_kind:     by_value
      - .offset:         64
        .size:           8
        .value_kind:     by_value
    .group_segment_fixed_size: 0
    .kernarg_segment_align: 8
    .kernarg_segment_size: 72
    .language:       OpenCL C
    .language_version:
      - 2
      - 0
    .max_flat_workgroup_size: 1024
    .name:           _ZL12ssm_conv_f32ILb0ELm128ELm4EEvPKfS1_S1_iiiiPfiiil
    .private_segment_fixed_size: 0
    .sgpr_count:     18
    .sgpr_spill_count: 0
    .symbol:         _ZL12ssm_conv_f32ILb0ELm128ELm4EEvPKfS1_S1_iiiiPfiiil.kd
    .uniform_work_group_size: 1
    .uses_dynamic_stack: false
    .vgpr_count:     17
    .vgpr_spill_count: 0
    .wavefront_size: 32
    .workgroup_processor_mode: 1
  - .args:
      - .actual_access:  read_only
        .address_space:  global
        .offset:         0
        .size:           8
        .value_kind:     global_buffer
      - .actual_access:  read_only
        .address_space:  global
        .offset:         8
        .size:           8
        .value_kind:     global_buffer
      - .actual_access:  read_only
        .address_space:  global
        .offset:         16
        .size:           8
        .value_kind:     global_buffer
      - .offset:         24
        .size:           4
        .value_kind:     by_value
      - .offset:         28
        .size:           4
        .value_kind:     by_value
      - .offset:         32
        .size:           4
        .value_kind:     by_value
      - .offset:         36
        .size:           4
        .value_kind:     by_value
      - .actual_access:  write_only
        .address_space:  global
        .offset:         40
        .size:           8
        .value_kind:     global_buffer
      - .offset:         48
        .size:           4
        .value_kind:     by_value
      - .offset:         52
        .size:           4
        .value_kind:     by_value
      - .offset:         56
        .size:           4
        .value_kind:     by_value
      - .offset:         64
        .size:           8
        .value_kind:     by_value
    .group_segment_fixed_size: 0
    .kernarg_segment_align: 8
    .kernarg_segment_size: 72
    .language:       OpenCL C
    .language_version:
      - 2
      - 0
    .max_flat_workgroup_size: 1024
    .name:           _ZL23ssm_conv_long_token_f32ILb0ELm128ELm4ELl32EEvPKfS1_S1_iiiiPfiiil
    .private_segment_fixed_size: 0
    .sgpr_count:     20
    .sgpr_spill_count: 0
    .symbol:         _ZL23ssm_conv_long_token_f32ILb0ELm128ELm4ELl32EEvPKfS1_S1_iiiiPfiiil.kd
    .uniform_work_group_size: 1
    .uses_dynamic_stack: false
    .vgpr_count:     71
    .vgpr_spill_count: 0
    .wavefront_size: 32
    .workgroup_processor_mode: 1
  - .args:
      - .address_space:  global
        .offset:         0
        .size:           8
        .value_kind:     global_buffer
      - .address_space:  global
        .offset:         8
        .size:           8
        .value_kind:     global_buffer
      - .address_space:  global
        .offset:         16
        .size:           8
        .value_kind:     global_buffer
      - .offset:         24
        .size:           4
        .value_kind:     by_value
      - .offset:         28
        .size:           4
        .value_kind:     by_value
      - .offset:         32
        .size:           4
        .value_kind:     by_value
      - .offset:         36
        .size:           4
        .value_kind:     by_value
      - .address_space:  global
        .offset:         40
        .size:           8
        .value_kind:     global_buffer
      - .offset:         48
        .size:           4
        .value_kind:     by_value
      - .offset:         52
        .size:           4
        .value_kind:     by_value
      - .offset:         56
        .size:           4
        .value_kind:     by_value
      - .offset:         64
        .size:           8
        .value_kind:     by_value
    .group_segment_fixed_size: 0
    .kernarg_segment_align: 8
    .kernarg_segment_size: 72
    .language:       OpenCL C
    .language_version:
      - 2
      - 0
    .max_flat_workgroup_size: 1024
    .name:           _ZL12ssm_conv_f32ILb0ELm128ELm5EEvPKfS1_S1_iiiiPfiiil
    .private_segment_fixed_size: 0
    .sgpr_count:     98
    .sgpr_spill_count: 0
    .symbol:         _ZL12ssm_conv_f32ILb0ELm128ELm5EEvPKfS1_S1_iiiiPfiiil.kd
    .uniform_work_group_size: 1
    .uses_dynamic_stack: false
    .vgpr_count:     18
    .vgpr_spill_count: 0
    .wavefront_size: 32
    .workgroup_processor_mode: 1
  - .args:
      - .actual_access:  read_only
        .address_space:  global
        .offset:         0
        .size:           8
        .value_kind:     global_buffer
      - .actual_access:  read_only
        .address_space:  global
        .offset:         8
        .size:           8
        .value_kind:     global_buffer
      - .actual_access:  read_only
        .address_space:  global
        .offset:         16
        .size:           8
        .value_kind:     global_buffer
      - .offset:         24
        .size:           4
        .value_kind:     by_value
      - .offset:         28
        .size:           4
        .value_kind:     by_value
      - .offset:         32
        .size:           4
        .value_kind:     by_value
      - .offset:         36
        .size:           4
        .value_kind:     by_value
      - .actual_access:  write_only
        .address_space:  global
        .offset:         40
        .size:           8
        .value_kind:     global_buffer
      - .offset:         48
        .size:           4
        .value_kind:     by_value
      - .offset:         52
        .size:           4
        .value_kind:     by_value
      - .offset:         56
        .size:           4
        .value_kind:     by_value
      - .offset:         64
        .size:           8
        .value_kind:     by_value
    .group_segment_fixed_size: 0
    .kernarg_segment_align: 8
    .kernarg_segment_size: 72
    .language:       OpenCL C
    .language_version:
      - 2
      - 0
    .max_flat_workgroup_size: 1024
    .name:           _ZL23ssm_conv_long_token_f32ILb0ELm128ELm5ELl32EEvPKfS1_S1_iiiiPfiiil
    .private_segment_fixed_size: 0
    .sgpr_count:     20
    .sgpr_spill_count: 0
    .symbol:         _ZL23ssm_conv_long_token_f32ILb0ELm128ELm5ELl32EEvPKfS1_S1_iiiiPfiiil.kd
    .uniform_work_group_size: 1
    .uses_dynamic_stack: false
    .vgpr_count:     71
    .vgpr_spill_count: 0
    .wavefront_size: 32
    .workgroup_processor_mode: 1
  - .args:
      - .address_space:  global
        .offset:         0
        .size:           8
        .value_kind:     global_buffer
      - .address_space:  global
        .offset:         8
        .size:           8
        .value_kind:     global_buffer
      - .address_space:  global
        .offset:         16
        .size:           8
        .value_kind:     global_buffer
      - .offset:         24
        .size:           4
        .value_kind:     by_value
      - .offset:         28
        .size:           4
        .value_kind:     by_value
      - .offset:         32
        .size:           4
        .value_kind:     by_value
      - .offset:         36
        .size:           4
        .value_kind:     by_value
      - .address_space:  global
        .offset:         40
        .size:           8
        .value_kind:     global_buffer
      - .offset:         48
        .size:           4
        .value_kind:     by_value
      - .offset:         52
        .size:           4
        .value_kind:     by_value
      - .offset:         56
        .size:           4
        .value_kind:     by_value
      - .offset:         64
        .size:           8
        .value_kind:     by_value
    .group_segment_fixed_size: 0
    .kernarg_segment_align: 8
    .kernarg_segment_size: 72
    .language:       OpenCL C
    .language_version:
      - 2
      - 0
    .max_flat_workgroup_size: 1024
    .name:           _ZL12ssm_conv_f32ILb0ELm128ELm9EEvPKfS1_S1_iiiiPfiiil
    .private_segment_fixed_size: 0
    .sgpr_count:     104
    .sgpr_spill_count: 0
    .symbol:         _ZL12ssm_conv_f32ILb0ELm128ELm9EEvPKfS1_S1_iiiiPfiiil.kd
    .uniform_work_group_size: 1
    .uses_dynamic_stack: false
    .vgpr_count:     30
    .vgpr_spill_count: 0
    .wavefront_size: 32
    .workgroup_processor_mode: 1
  - .args:
      - .actual_access:  read_only
        .address_space:  global
        .offset:         0
        .size:           8
        .value_kind:     global_buffer
      - .actual_access:  read_only
        .address_space:  global
        .offset:         8
        .size:           8
        .value_kind:     global_buffer
      - .actual_access:  read_only
        .address_space:  global
        .offset:         16
        .size:           8
        .value_kind:     global_buffer
      - .offset:         24
        .size:           4
        .value_kind:     by_value
      - .offset:         28
        .size:           4
        .value_kind:     by_value
      - .offset:         32
        .size:           4
        .value_kind:     by_value
      - .offset:         36
        .size:           4
        .value_kind:     by_value
      - .actual_access:  write_only
        .address_space:  global
        .offset:         40
        .size:           8
        .value_kind:     global_buffer
      - .offset:         48
        .size:           4
        .value_kind:     by_value
      - .offset:         52
        .size:           4
        .value_kind:     by_value
      - .offset:         56
        .size:           4
        .value_kind:     by_value
      - .offset:         64
        .size:           8
        .value_kind:     by_value
    .group_segment_fixed_size: 0
    .kernarg_segment_align: 8
    .kernarg_segment_size: 72
    .language:       OpenCL C
    .language_version:
      - 2
      - 0
    .max_flat_workgroup_size: 1024
    .name:           _ZL23ssm_conv_long_token_f32ILb0ELm128ELm9ELl32EEvPKfS1_S1_iiiiPfiiil
    .private_segment_fixed_size: 0
    .sgpr_count:     20
    .sgpr_spill_count: 0
    .symbol:         _ZL23ssm_conv_long_token_f32ILb0ELm128ELm9ELl32EEvPKfS1_S1_iiiiPfiiil.kd
    .uniform_work_group_size: 1
    .uses_dynamic_stack: false
    .vgpr_count:     88
    .vgpr_spill_count: 0
    .wavefront_size: 32
    .workgroup_processor_mode: 1
  - .args:
      - .address_space:  global
        .offset:         0
        .size:           8
        .value_kind:     global_buffer
      - .address_space:  global
        .offset:         8
        .size:           8
        .value_kind:     global_buffer
      - .address_space:  global
        .offset:         16
        .size:           8
        .value_kind:     global_buffer
      - .offset:         24
        .size:           4
        .value_kind:     by_value
      - .offset:         28
        .size:           4
        .value_kind:     by_value
      - .offset:         32
        .size:           4
        .value_kind:     by_value
      - .offset:         36
        .size:           4
        .value_kind:     by_value
      - .address_space:  global
        .offset:         40
        .size:           8
        .value_kind:     global_buffer
      - .offset:         48
        .size:           4
        .value_kind:     by_value
      - .offset:         52
        .size:           4
        .value_kind:     by_value
      - .offset:         56
        .size:           4
        .value_kind:     by_value
      - .offset:         64
        .size:           8
        .value_kind:     by_value
    .group_segment_fixed_size: 0
    .kernarg_segment_align: 8
    .kernarg_segment_size: 72
    .language:       OpenCL C
    .language_version:
      - 2
      - 0
    .max_flat_workgroup_size: 1024
    .name:           _ZL12ssm_conv_f32ILb0ELm128ELm15EEvPKfS1_S1_iiiiPfiiil
    .private_segment_fixed_size: 0
    .sgpr_count:     107
    .sgpr_spill_count: 0
    .symbol:         _ZL12ssm_conv_f32ILb0ELm128ELm15EEvPKfS1_S1_iiiiPfiiil.kd
    .uniform_work_group_size: 1
    .uses_dynamic_stack: false
    .vgpr_count:     46
    .vgpr_spill_count: 0
    .wavefront_size: 32
    .workgroup_processor_mode: 1
  - .args:
      - .actual_access:  read_only
        .address_space:  global
        .offset:         0
        .size:           8
        .value_kind:     global_buffer
      - .actual_access:  read_only
        .address_space:  global
        .offset:         8
        .size:           8
        .value_kind:     global_buffer
      - .actual_access:  read_only
        .address_space:  global
        .offset:         16
        .size:           8
        .value_kind:     global_buffer
      - .offset:         24
        .size:           4
        .value_kind:     by_value
      - .offset:         28
        .size:           4
        .value_kind:     by_value
      - .offset:         32
        .size:           4
        .value_kind:     by_value
      - .offset:         36
        .size:           4
        .value_kind:     by_value
      - .actual_access:  write_only
        .address_space:  global
        .offset:         40
        .size:           8
        .value_kind:     global_buffer
      - .offset:         48
        .size:           4
        .value_kind:     by_value
      - .offset:         52
        .size:           4
        .value_kind:     by_value
      - .offset:         56
        .size:           4
        .value_kind:     by_value
      - .offset:         64
        .size:           8
        .value_kind:     by_value
    .group_segment_fixed_size: 0
    .kernarg_segment_align: 8
    .kernarg_segment_size: 72
    .language:       OpenCL C
    .language_version:
      - 2
      - 0
    .max_flat_workgroup_size: 1024
    .name:           _ZL23ssm_conv_long_token_f32ILb0ELm128ELm15ELl32EEvPKfS1_S1_iiiiPfiiil
    .private_segment_fixed_size: 0
    .sgpr_count:     20
    .sgpr_spill_count: 0
    .symbol:         _ZL23ssm_conv_long_token_f32ILb0ELm128ELm15ELl32EEvPKfS1_S1_iiiiPfiiil.kd
    .uniform_work_group_size: 1
    .uses_dynamic_stack: false
    .vgpr_count:     90
    .vgpr_spill_count: 0
    .wavefront_size: 32
    .workgroup_processor_mode: 1
amdhsa.target:   amdgcn-amd-amdhsa--gfx1201
amdhsa.version:
  - 1
  - 2
...

	.end_amdgpu_metadata
